;; amdgpu-corpus repo=pytorch/pytorch kind=compiled arch=gfx1100 opt=O3
	.text
	.amdgcn_target "amdgcn-amd-amdhsa--gfx1100"
	.amdhsa_code_object_version 6
	.section	.text._ZN2at6native12_GLOBAL__N_143distribution_elementwise_grid_stride_kernelIfLi4EZNS0_9templates4cuda21uniform_and_transformIhfPNS_17CUDAGeneratorImplEZZZNS4_16geometric_kernelIS7_EEvRNS_18TensorIteratorBaseEdT_ENKUlvE_clEvENKUlvE_clEvEUlfE_EEvSA_T1_T2_EUlP25hiprandStatePhilox4_32_10E_ZNS1_27distribution_nullary_kernelIhf15HIP_vector_typeIdLj2EES7_SJ_SE_EEvSA_SG_RKT3_T4_EUlifE_EEvlNS_15PhiloxCudaStateESF_SG_,"axG",@progbits,_ZN2at6native12_GLOBAL__N_143distribution_elementwise_grid_stride_kernelIfLi4EZNS0_9templates4cuda21uniform_and_transformIhfPNS_17CUDAGeneratorImplEZZZNS4_16geometric_kernelIS7_EEvRNS_18TensorIteratorBaseEdT_ENKUlvE_clEvENKUlvE_clEvEUlfE_EEvSA_T1_T2_EUlP25hiprandStatePhilox4_32_10E_ZNS1_27distribution_nullary_kernelIhf15HIP_vector_typeIdLj2EES7_SJ_SE_EEvSA_SG_RKT3_T4_EUlifE_EEvlNS_15PhiloxCudaStateESF_SG_,comdat
	.globl	_ZN2at6native12_GLOBAL__N_143distribution_elementwise_grid_stride_kernelIfLi4EZNS0_9templates4cuda21uniform_and_transformIhfPNS_17CUDAGeneratorImplEZZZNS4_16geometric_kernelIS7_EEvRNS_18TensorIteratorBaseEdT_ENKUlvE_clEvENKUlvE_clEvEUlfE_EEvSA_T1_T2_EUlP25hiprandStatePhilox4_32_10E_ZNS1_27distribution_nullary_kernelIhf15HIP_vector_typeIdLj2EES7_SJ_SE_EEvSA_SG_RKT3_T4_EUlifE_EEvlNS_15PhiloxCudaStateESF_SG_ ; -- Begin function _ZN2at6native12_GLOBAL__N_143distribution_elementwise_grid_stride_kernelIfLi4EZNS0_9templates4cuda21uniform_and_transformIhfPNS_17CUDAGeneratorImplEZZZNS4_16geometric_kernelIS7_EEvRNS_18TensorIteratorBaseEdT_ENKUlvE_clEvENKUlvE_clEvEUlfE_EEvSA_T1_T2_EUlP25hiprandStatePhilox4_32_10E_ZNS1_27distribution_nullary_kernelIhf15HIP_vector_typeIdLj2EES7_SJ_SE_EEvSA_SG_RKT3_T4_EUlifE_EEvlNS_15PhiloxCudaStateESF_SG_
	.p2align	8
	.type	_ZN2at6native12_GLOBAL__N_143distribution_elementwise_grid_stride_kernelIfLi4EZNS0_9templates4cuda21uniform_and_transformIhfPNS_17CUDAGeneratorImplEZZZNS4_16geometric_kernelIS7_EEvRNS_18TensorIteratorBaseEdT_ENKUlvE_clEvENKUlvE_clEvEUlfE_EEvSA_T1_T2_EUlP25hiprandStatePhilox4_32_10E_ZNS1_27distribution_nullary_kernelIhf15HIP_vector_typeIdLj2EES7_SJ_SE_EEvSA_SG_RKT3_T4_EUlifE_EEvlNS_15PhiloxCudaStateESF_SG_,@function
_ZN2at6native12_GLOBAL__N_143distribution_elementwise_grid_stride_kernelIfLi4EZNS0_9templates4cuda21uniform_and_transformIhfPNS_17CUDAGeneratorImplEZZZNS4_16geometric_kernelIS7_EEvRNS_18TensorIteratorBaseEdT_ENKUlvE_clEvENKUlvE_clEvEUlfE_EEvSA_T1_T2_EUlP25hiprandStatePhilox4_32_10E_ZNS1_27distribution_nullary_kernelIhf15HIP_vector_typeIdLj2EES7_SJ_SE_EEvSA_SG_RKT3_T4_EUlifE_EEvlNS_15PhiloxCudaStateESF_SG_: ; @_ZN2at6native12_GLOBAL__N_143distribution_elementwise_grid_stride_kernelIfLi4EZNS0_9templates4cuda21uniform_and_transformIhfPNS_17CUDAGeneratorImplEZZZNS4_16geometric_kernelIS7_EEvRNS_18TensorIteratorBaseEdT_ENKUlvE_clEvENKUlvE_clEvEUlfE_EEvSA_T1_T2_EUlP25hiprandStatePhilox4_32_10E_ZNS1_27distribution_nullary_kernelIhf15HIP_vector_typeIdLj2EES7_SJ_SE_EEvSA_SG_RKT3_T4_EUlifE_EEvlNS_15PhiloxCudaStateESF_SG_
; %bb.0:
	s_clause 0x2
	s_load_b64 s[8:9], s[0:1], 0x10
	s_load_b128 s[4:7], s[0:1], 0x0
	s_load_b32 s2, s[0:1], 0x20
	s_waitcnt lgkmcnt(0)
	v_dual_mov_b32 v2, s8 :: v_dual_mov_b32 v3, s9
	v_dual_mov_b32 v9, s7 :: v_dual_mov_b32 v8, s6
	s_bitcmp0_b32 s2, 0
	s_mov_b32 s2, 0
	s_cbranch_scc1 .LBB0_2
; %bb.1:
	v_dual_mov_b32 v1, s8 :: v_dual_mov_b32 v2, s9
	v_dual_mov_b32 v4, s6 :: v_dual_mov_b32 v5, s7
	s_load_b64 s[6:7], s[0:1], 0x18
	flat_load_b64 v[2:3], v[1:2]
	flat_load_b64 v[8:9], v[4:5]
	s_waitcnt vmcnt(1) lgkmcnt(0)
	v_add_co_u32 v2, vcc_lo, v2, s6
	v_add_co_ci_u32_e32 v3, vcc_lo, s7, v3, vcc_lo
.LBB0_2:
	s_clause 0x1
	s_load_b32 s3, s[0:1], 0x54
	s_load_b32 s11, s[0:1], 0x48
	s_waitcnt lgkmcnt(0)
	s_and_b32 s10, s3, 0xffff
	s_add_u32 s6, s4, -1
	s_mul_i32 s8, s11, s10
	s_addc_u32 s3, s5, -1
	s_lshl_b32 s9, s8, 2
	s_cmp_lg_u64 s[2:3], 0
	s_cbranch_scc0 .LBB0_27
; %bb.3:
	v_cvt_f32_ubyte0_e32 v1, 0
	v_cvt_f32_u32_e32 v4, s9
	s_sub_u32 s12, 0, s9
	s_subb_u32 s13, 0, 0
	s_delay_alu instid0(VALU_DEP_1) | instskip(NEXT) | instid1(VALU_DEP_1)
	v_fmamk_f32 v1, v1, 0x4f800000, v4
	v_rcp_f32_e32 v1, v1
	s_waitcnt_depctr 0xfff
	v_mul_f32_e32 v1, 0x5f7ffffc, v1
	s_delay_alu instid0(VALU_DEP_1) | instskip(NEXT) | instid1(VALU_DEP_1)
	v_mul_f32_e32 v4, 0x2f800000, v1
	v_trunc_f32_e32 v4, v4
	s_delay_alu instid0(VALU_DEP_1) | instskip(SKIP_1) | instid1(VALU_DEP_2)
	v_fmamk_f32 v1, v4, 0xcf800000, v1
	v_cvt_u32_f32_e32 v4, v4
	v_cvt_u32_f32_e32 v1, v1
	s_delay_alu instid0(VALU_DEP_2) | instskip(NEXT) | instid1(VALU_DEP_2)
	v_readfirstlane_b32 s2, v4
	v_readfirstlane_b32 s7, v1
	s_delay_alu instid0(VALU_DEP_2) | instskip(NEXT) | instid1(VALU_DEP_1)
	s_mul_i32 s14, s12, s2
	s_mul_hi_u32 s17, s12, s7
	s_mul_i32 s16, s13, s7
	s_add_i32 s14, s17, s14
	s_mul_i32 s18, s12, s7
	s_add_i32 s14, s14, s16
	s_mul_hi_u32 s17, s7, s18
	s_mul_hi_u32 s19, s2, s18
	s_mul_i32 s16, s2, s18
	s_mul_hi_u32 s18, s7, s14
	s_mul_i32 s7, s7, s14
	s_mul_hi_u32 s20, s2, s14
	s_add_u32 s7, s17, s7
	s_addc_u32 s17, 0, s18
	s_add_u32 s7, s7, s16
	s_mul_i32 s14, s2, s14
	s_addc_u32 s7, s17, s19
	s_addc_u32 s16, s20, 0
	s_add_u32 s7, s7, s14
	s_addc_u32 s14, 0, s16
	v_add_co_u32 v1, s7, v1, s7
	s_delay_alu instid0(VALU_DEP_1) | instskip(SKIP_1) | instid1(VALU_DEP_1)
	s_cmp_lg_u32 s7, 0
	s_addc_u32 s2, s2, s14
	v_readfirstlane_b32 s7, v1
	s_mul_i32 s14, s12, s2
	s_delay_alu instid0(VALU_DEP_1)
	s_mul_hi_u32 s16, s12, s7
	s_mul_i32 s13, s13, s7
	s_add_i32 s14, s16, s14
	s_mul_i32 s12, s12, s7
	s_add_i32 s14, s14, s13
	s_mul_hi_u32 s16, s2, s12
	s_mul_i32 s17, s2, s12
	s_mul_hi_u32 s12, s7, s12
	s_mul_hi_u32 s18, s7, s14
	s_mul_i32 s7, s7, s14
	s_mul_hi_u32 s13, s2, s14
	s_add_u32 s7, s12, s7
	s_addc_u32 s12, 0, s18
	s_add_u32 s7, s7, s17
	s_mul_i32 s14, s2, s14
	s_addc_u32 s7, s12, s16
	s_addc_u32 s12, s13, 0
	s_add_u32 s7, s7, s14
	s_addc_u32 s12, 0, s12
	v_add_co_u32 v1, s7, v1, s7
	s_delay_alu instid0(VALU_DEP_1) | instskip(SKIP_2) | instid1(VALU_DEP_1)
	s_cmp_lg_u32 s7, 0
	s_addc_u32 s7, s2, s12
	s_ashr_i32 s12, s3, 31
	v_readfirstlane_b32 s14, v1
	s_add_u32 s2, s6, s12
	s_mov_b32 s13, s12
	s_addc_u32 s3, s3, s12
	s_delay_alu instid0(SALU_CYCLE_1) | instskip(NEXT) | instid1(SALU_CYCLE_1)
	s_xor_b64 s[2:3], s[2:3], s[12:13]
	s_mul_i32 s17, s2, s7
	s_mul_hi_u32 s18, s2, s14
	s_mul_hi_u32 s16, s2, s7
	;; [unrolled: 1-line block ×3, first 2 shown]
	s_mul_i32 s14, s3, s14
	s_add_u32 s17, s18, s17
	s_addc_u32 s16, 0, s16
	s_mul_hi_u32 s19, s3, s7
	s_add_u32 s14, s17, s14
	s_mul_i32 s7, s3, s7
	s_addc_u32 s14, s16, s20
	s_addc_u32 s16, s19, 0
	s_add_u32 s7, s14, s7
	s_addc_u32 s14, 0, s16
	s_mul_i32 s17, s9, s7
	s_add_u32 s16, s7, 1
	v_sub_co_u32 v1, s2, s2, s17
	s_mul_hi_u32 s17, s9, s7
	s_addc_u32 s18, s14, 0
	s_mul_i32 s19, s9, s14
	s_delay_alu instid0(VALU_DEP_1)
	v_sub_co_u32 v4, s20, v1, s9
	s_add_u32 s21, s7, 2
	s_addc_u32 s22, s14, 0
	s_add_i32 s17, s17, s19
	s_cmp_lg_u32 s2, 0
	v_readfirstlane_b32 s2, v4
	s_subb_u32 s3, s3, s17
	s_cmp_lg_u32 s20, 0
	s_subb_u32 s17, s3, 0
	s_delay_alu instid0(VALU_DEP_1) | instskip(SKIP_4) | instid1(SALU_CYCLE_1)
	s_cmp_ge_u32 s2, s9
	s_cselect_b32 s2, -1, 0
	s_cmp_eq_u32 s17, 0
	v_readfirstlane_b32 s17, v1
	s_cselect_b32 s2, s2, -1
	s_cmp_lg_u32 s2, 0
	s_cselect_b32 s2, s21, s16
	s_cselect_b32 s16, s22, s18
	s_cmp_ge_u32 s17, s9
	s_cselect_b32 s17, -1, 0
	s_cmp_eq_u32 s3, 0
	s_cselect_b32 s3, s17, -1
	s_delay_alu instid0(SALU_CYCLE_1) | instskip(SKIP_2) | instid1(SALU_CYCLE_1)
	s_cmp_lg_u32 s3, 0
	s_cselect_b32 s3, s16, s14
	s_cselect_b32 s2, s2, s7
	s_xor_b64 s[2:3], s[2:3], s[12:13]
	s_delay_alu instid0(SALU_CYCLE_1)
	s_sub_u32 s2, s2, s12
	s_subb_u32 s3, s3, s12
	s_cbranch_execnz .LBB0_5
.LBB0_4:
	v_cvt_f32_u32_e32 v1, s9
	s_sub_i32 s3, 0, s9
	s_delay_alu instid0(VALU_DEP_1) | instskip(SKIP_2) | instid1(VALU_DEP_1)
	v_rcp_iflag_f32_e32 v1, v1
	s_waitcnt_depctr 0xfff
	v_mul_f32_e32 v1, 0x4f7ffffe, v1
	v_cvt_u32_f32_e32 v1, v1
	s_delay_alu instid0(VALU_DEP_1) | instskip(NEXT) | instid1(VALU_DEP_1)
	v_readfirstlane_b32 s2, v1
	s_mul_i32 s3, s3, s2
	s_delay_alu instid0(SALU_CYCLE_1) | instskip(NEXT) | instid1(SALU_CYCLE_1)
	s_mul_hi_u32 s3, s2, s3
	s_add_i32 s2, s2, s3
	s_delay_alu instid0(SALU_CYCLE_1) | instskip(NEXT) | instid1(SALU_CYCLE_1)
	s_mul_hi_u32 s2, s6, s2
	s_mul_i32 s3, s2, s9
	s_delay_alu instid0(SALU_CYCLE_1)
	s_sub_i32 s3, s6, s3
	s_add_i32 s6, s2, 1
	s_sub_i32 s7, s3, s9
	s_cmp_ge_u32 s3, s9
	s_cselect_b32 s2, s6, s2
	s_cselect_b32 s3, s7, s3
	s_add_i32 s6, s2, 1
	s_cmp_ge_u32 s3, s9
	s_mov_b32 s3, 0
	s_cselect_b32 s2, s6, s2
.LBB0_5:
	v_mov_b32_e32 v1, 0
	s_add_u32 s2, s2, 1
	s_addc_u32 s3, s3, 0
	s_mul_hi_u32 s6, s8, s2
	s_mul_i32 s3, s8, s3
	v_mad_u64_u32 v[10:11], null, s10, s15, v[0:1]
	s_mul_hi_u32 s7, s11, s10
	s_add_i32 s3, s6, s3
	s_mul_i32 s7, s7, s2
	s_mul_i32 s2, s8, s2
	s_add_i32 s3, s3, s7
	s_mov_b32 s6, exec_lo
	s_lshl_b64 s[2:3], s[2:3], 2
	s_delay_alu instid0(SALU_CYCLE_1)
	v_cmpx_gt_i64_e64 s[2:3], v[10:11]
	s_cbranch_execz .LBB0_26
; %bb.6:
	s_load_b64 s[6:7], s[0:1], 0x40
	v_alignbit_b32 v21, v3, v2, 2
	v_lshrrev_b32_e32 v22, 2, v3
	s_waitcnt vmcnt(0)
	v_add_co_u32 v20, null, 0x9e3779b9, v8
	v_add_co_u32 v23, null, 0x3c6ef372, v8
	;; [unrolled: 1-line block ×5, first 2 shown]
	s_add_i32 s16, s15, s11
	s_mul_i32 s13, s11, 3
	v_add_co_u32 v26, null, 0xf1bbcdc8, v8
	s_add_i32 s13, s15, s13
	v_mov_b32_e32 v40, v9
	s_waitcnt lgkmcnt(0)
	v_cvt_f32_f64_e32 v32, s[6:7]
	s_clause 0x1
	s_load_b64 s[6:7], s[0:1], 0x30
	s_load_b32 s12, s[0:1], 0x38
	s_mov_b32 s1, 0x3e9b6dac
	s_mov_b32 s0, 0
	v_add_co_u32 v27, null, 0xbb67ae85, v40
	v_log_f32_e32 v33, s0
	s_delay_alu instid0(VALU_DEP_2) | instskip(SKIP_1) | instid1(VALU_DEP_2)
	v_sub_f32_e32 v1, 1.0, v32
	v_cmp_gt_f32_e64 s14, 0x33800000, |v32|
	v_cvt_f64_f32_e32 v[4:5], v1
	s_delay_alu instid0(VALU_DEP_1) | instskip(SKIP_1) | instid1(VALU_DEP_1)
	v_frexp_exp_i32_f64_e32 v4, v[4:5]
	v_frexp_mant_f32_e32 v5, v1
	v_cmp_gt_f32_e32 vcc_lo, 0x3f2aaaab, v5
	v_add_f32_e32 v5, -1.0, v1
	s_delay_alu instid0(VALU_DEP_1) | instskip(SKIP_3) | instid1(VALU_DEP_2)
	v_sub_f32_e32 v7, v5, v1
	v_sub_f32_e64 v5, -v32, v5
	v_subrev_co_ci_u32_e32 v4, vcc_lo, 0, v4, vcc_lo
	v_cmp_eq_f32_e32 vcc_lo, 0xff800000, v32
	v_sub_nc_u32_e32 v6, 0, v4
	v_cvt_f32_i32_e32 v4, v4
	s_delay_alu instid0(VALU_DEP_2) | instskip(NEXT) | instid1(VALU_DEP_1)
	v_ldexp_f32 v1, v1, v6
	v_dual_add_f32 v7, 1.0, v7 :: v_dual_add_f32 v12, 1.0, v1
	s_delay_alu instid0(VALU_DEP_1) | instskip(NEXT) | instid1(VALU_DEP_1)
	v_add_f32_e32 v5, v5, v7
	v_ldexp_f32 v5, v5, v6
	s_delay_alu instid0(VALU_DEP_3) | instskip(NEXT) | instid1(VALU_DEP_1)
	v_dual_add_f32 v6, -1.0, v1 :: v_dual_add_f32 v7, -1.0, v12
	v_add_f32_e32 v13, 1.0, v6
	s_delay_alu instid0(VALU_DEP_2) | instskip(NEXT) | instid1(VALU_DEP_2)
	v_sub_f32_e32 v7, v1, v7
	v_sub_f32_e32 v1, v1, v13
	s_delay_alu instid0(VALU_DEP_1) | instskip(NEXT) | instid1(VALU_DEP_1)
	v_add_f32_e32 v1, v5, v1
	v_dual_add_f32 v14, v6, v1 :: v_dual_add_f32 v7, v5, v7
	s_delay_alu instid0(VALU_DEP_1) | instskip(NEXT) | instid1(VALU_DEP_1)
	v_dual_sub_f32 v6, v14, v6 :: v_dual_add_f32 v13, v12, v7
	v_sub_f32_e32 v1, v1, v6
	s_delay_alu instid0(VALU_DEP_2) | instskip(SKIP_1) | instid1(VALU_DEP_1)
	v_rcp_f32_e32 v5, v13
	v_sub_f32_e32 v12, v13, v12
	v_sub_f32_e32 v7, v7, v12
	s_waitcnt_depctr 0xfff
	v_mul_f32_e32 v15, v14, v5
	s_delay_alu instid0(VALU_DEP_1) | instskip(NEXT) | instid1(VALU_DEP_1)
	v_mul_f32_e32 v16, v13, v15
	v_fma_f32 v12, v15, v13, -v16
	s_delay_alu instid0(VALU_DEP_1) | instskip(NEXT) | instid1(VALU_DEP_1)
	v_fmac_f32_e32 v12, v15, v7
	v_add_f32_e32 v17, v16, v12
	s_delay_alu instid0(VALU_DEP_1) | instskip(SKIP_1) | instid1(VALU_DEP_2)
	v_sub_f32_e32 v18, v14, v17
	v_sub_f32_e32 v6, v17, v16
	;; [unrolled: 1-line block ×3, first 2 shown]
	s_delay_alu instid0(VALU_DEP_2) | instskip(NEXT) | instid1(VALU_DEP_2)
	v_sub_f32_e32 v6, v6, v12
	v_sub_f32_e32 v14, v14, v17
	s_delay_alu instid0(VALU_DEP_1) | instskip(NEXT) | instid1(VALU_DEP_1)
	v_add_f32_e32 v1, v1, v14
	v_add_f32_e32 v1, v6, v1
	s_delay_alu instid0(VALU_DEP_1) | instskip(NEXT) | instid1(VALU_DEP_1)
	v_add_f32_e32 v6, v18, v1
	v_mul_f32_e32 v12, v5, v6
	v_sub_f32_e32 v17, v18, v6
	v_add_co_u32 v18, null, 0x1715609d, v8
	s_delay_alu instid0(VALU_DEP_3) | instskip(NEXT) | instid1(VALU_DEP_3)
	v_mul_f32_e32 v14, v13, v12
	v_add_f32_e32 v1, v1, v17
	v_add_co_u32 v17, null, 0x5384540f, v8
	s_delay_alu instid0(VALU_DEP_3) | instskip(NEXT) | instid1(VALU_DEP_1)
	v_fma_f32 v13, v12, v13, -v14
	v_fmac_f32_e32 v13, v12, v7
	s_delay_alu instid0(VALU_DEP_1) | instskip(NEXT) | instid1(VALU_DEP_1)
	v_add_f32_e32 v7, v14, v13
	v_sub_f32_e32 v16, v6, v7
	s_delay_alu instid0(VALU_DEP_1) | instskip(NEXT) | instid1(VALU_DEP_1)
	v_sub_f32_e32 v6, v6, v16
	v_sub_f32_e32 v6, v6, v7
	s_delay_alu instid0(VALU_DEP_1) | instskip(SKIP_1) | instid1(VALU_DEP_1)
	v_dual_add_f32 v1, v1, v6 :: v_dual_add_f32 v6, v15, v12
	v_sub_f32_e32 v14, v7, v14
	v_dual_sub_f32 v7, v14, v13 :: v_dual_and_b32 v14, 3, v2
	s_delay_alu instid0(VALU_DEP_1) | instskip(NEXT) | instid1(VALU_DEP_4)
	v_add_f32_e32 v1, v7, v1
	v_sub_f32_e32 v7, v6, v15
	s_delay_alu instid0(VALU_DEP_2) | instskip(NEXT) | instid1(VALU_DEP_2)
	v_add_f32_e32 v1, v16, v1
	v_dual_sub_f32 v7, v12, v7 :: v_dual_add_nc_u32 v16, 0x96a522ad, v9
	s_delay_alu instid0(VALU_DEP_2) | instskip(NEXT) | instid1(VALU_DEP_1)
	v_mul_f32_e32 v1, v5, v1
	v_add_f32_e32 v1, v7, v1
	s_delay_alu instid0(VALU_DEP_1) | instskip(NEXT) | instid1(VALU_DEP_1)
	v_add_f32_e32 v5, v6, v1
	v_mul_f32_e32 v7, v5, v5
	s_delay_alu instid0(VALU_DEP_1) | instskip(SKIP_2) | instid1(VALU_DEP_2)
	v_fmaak_f32 v12, s1, v7, 0x3ecc95a3
	v_mul_f32_e32 v13, v5, v7
	s_lshl_b32 s1, s8, 1
	v_fmaak_f32 v7, v7, v12, 0x3f2aaada
	v_ldexp_f32 v12, v5, 1
	v_sub_f32_e32 v5, v5, v6
	s_delay_alu instid0(VALU_DEP_3) | instskip(SKIP_1) | instid1(VALU_DEP_3)
	v_mul_f32_e32 v7, v13, v7
	v_mul_f32_e32 v13, 0x3f317218, v4
	v_sub_f32_e32 v5, v1, v5
	v_mad_u64_u32 v[1:2], null, 0xcd9e8d57, v10, 0
	s_delay_alu instid0(VALU_DEP_4) | instskip(NEXT) | instid1(VALU_DEP_4)
	v_add_f32_e32 v6, v12, v7
	v_fma_f32 v3, 0x3f317218, v4, -v13
	s_delay_alu instid0(VALU_DEP_4) | instskip(NEXT) | instid1(VALU_DEP_3)
	v_ldexp_f32 v5, v5, 1
	v_sub_f32_e32 v12, v6, v12
	v_xor3_b32 v2, v8, v2, v22
	s_delay_alu instid0(VALU_DEP_2) | instskip(SKIP_1) | instid1(VALU_DEP_2)
	v_dual_sub_f32 v7, v7, v12 :: v_dual_fmamk_f32 v12, v4, 0xb102e308, v3
	v_mad_u64_u32 v[3:4], null, 0xd2511f53, v21, 0
	v_add_f32_e32 v7, v5, v7
	s_delay_alu instid0(VALU_DEP_1) | instskip(SKIP_1) | instid1(VALU_DEP_4)
	v_dual_add_f32 v28, v13, v12 :: v_dual_add_f32 v29, v6, v7
	v_add_nc_u32_e32 v15, 0x8ff34781, v8
	v_xor_b32_e32 v31, v4, v9
	v_mad_u64_u32 v[4:5], null, 0xd2511f53, v2, 0
	s_delay_alu instid0(VALU_DEP_4) | instskip(SKIP_1) | instid1(VALU_DEP_4)
	v_add_f32_e32 v30, v28, v29
	v_dual_sub_f32 v13, v28, v13 :: v_dual_sub_f32 v6, v29, v6
	v_xor_b32_e32 v31, v31, v11
	s_delay_alu instid0(VALU_DEP_3) | instskip(NEXT) | instid1(VALU_DEP_3)
	v_sub_f32_e32 v2, v30, v28
	v_dual_sub_f32 v36, v12, v13 :: v_dual_sub_f32 v7, v7, v6
	v_xor3_b32 v35, v27, v5, v3
	s_delay_alu instid0(VALU_DEP_3) | instskip(SKIP_3) | instid1(VALU_DEP_4)
	v_sub_f32_e32 v34, v30, v2
	v_sub_f32_e32 v12, v29, v2
	v_mad_u64_u32 v[2:3], null, 0xcd9e8d57, v31, 0
	v_add_f32_e32 v29, v36, v7
	v_sub_f32_e32 v13, v28, v34
	v_mad_u64_u32 v[5:6], null, 0xcd9e8d57, v35, 0
	s_delay_alu instid0(VALU_DEP_2) | instskip(SKIP_3) | instid1(VALU_DEP_4)
	v_add_f32_e32 v28, v12, v13
	v_mad_u64_u32 v[12:13], null, s15, s10, v[0:1]
	v_sub_f32_e32 v13, v29, v36
	v_xor3_b32 v3, v20, v3, v1
	v_add_f32_e32 v31, v29, v28
	v_xor3_b32 v34, v23, v6, v2
	v_add_co_u32 v28, null, 0x76cf5d0a, v40
	s_delay_alu instid0(VALU_DEP_3) | instskip(SKIP_2) | instid1(VALU_DEP_3)
	v_dual_sub_f32 v6, v29, v13 :: v_dual_add_f32 v35, v30, v31
	v_mad_u64_u32 v[1:2], null, 0xd2511f53, v3, 0
	v_sub_f32_e32 v3, v7, v13
	v_sub_f32_e32 v13, v36, v6
	s_delay_alu instid0(VALU_DEP_4) | instskip(SKIP_2) | instid1(VALU_DEP_4)
	v_sub_f32_e32 v30, v35, v30
	v_mad_u64_u32 v[6:7], null, 0xd2511f53, v34, 0
	v_add_co_u32 v29, null, 0x32370b8f, v40
	v_add_f32_e32 v3, v3, v13
	s_delay_alu instid0(VALU_DEP_4)
	v_sub_f32_e32 v13, v31, v30
	v_xor3_b32 v4, v28, v2, v4
	v_mul_f32_e32 v34, 0x3f317217, v33
	v_xor3_b32 v7, v29, v7, v1
	v_add_co_u32 v30, null, 0xed9eba14, v40
	v_add_f32_e32 v13, v3, v13
	v_mad_u64_u32 v[1:2], null, 0xcd9e8d57, v4, 0
	s_delay_alu instid0(VALU_DEP_4) | instskip(NEXT) | instid1(VALU_DEP_3)
	v_mad_u64_u32 v[3:4], null, 0xcd9e8d57, v7, 0
	v_add_f32_e32 v7, v35, v13
	v_fma_f32 v36, 0x3f317217, v33, -v34
	v_add_co_u32 v31, null, 0xa9066899, v40
	v_xor3_b32 v5, v19, v2, v5
	s_delay_alu instid0(VALU_DEP_4)
	v_cndmask_b32_e64 v7, v7, -v32, vcc_lo
	v_cmp_nlt_f32_e32 vcc_lo, 1.0, v32
	v_xor3_b32 v13, v24, v4, v1
	v_fmac_f32_e32 v36, 0x3377d1cf, v33
	v_mad_u64_u32 v[1:2], null, 0xd2511f53, v5, 0
	v_cndmask_b32_e32 v7, 0x7fc00000, v7, vcc_lo
	v_cmp_neq_f32_e32 vcc_lo, 1.0, v32
	s_delay_alu instid0(VALU_DEP_4)
	v_add_f32_e32 v34, v34, v36
	v_mad_u64_u32 v[4:5], null, 0xd2511f53, v13, 0
	v_add_co_u32 v35, null, 0x1fd5c5a3, v40
	v_cndmask_b32_e32 v7, 0xff800000, v7, vcc_lo
	v_cmp_gt_f32_e64 vcc_lo, 0x7f800000, |v33|
	v_xor3_b32 v2, v30, v2, v6
	v_xor3_b32 v5, v31, v5, v1
	s_delay_alu instid0(VALU_DEP_4) | instskip(SKIP_1) | instid1(VALU_DEP_4)
	v_cndmask_b32_e64 v32, v7, -v32, s14
	v_cndmask_b32_e32 v13, v33, v34, vcc_lo
	v_mad_u64_u32 v[6:7], null, 0xcd9e8d57, v2, 0
	s_delay_alu instid0(VALU_DEP_4) | instskip(NEXT) | instid1(VALU_DEP_3)
	v_mad_u64_u32 v[1:2], null, 0xcd9e8d57, v5, 0
	v_div_scale_f32 v45, null, v32, v32, v13
	v_add_co_u32 v34, null, 0x646e171e, v40
	s_delay_alu instid0(VALU_DEP_4) | instskip(NEXT) | instid1(VALU_DEP_3)
	v_xor3_b32 v3, v18, v7, v3
	v_rcp_f32_e32 v46, v45
	s_delay_alu instid0(VALU_DEP_4) | instskip(SKIP_1) | instid1(VALU_DEP_3)
	v_xor3_b32 v5, v25, v2, v6
	v_div_scale_f32 v47, vcc_lo, v13, v32, v13
	v_mad_u64_u32 v[36:37], null, 0xd2511f53, v3, 0
	s_delay_alu instid0(VALU_DEP_3)
	v_mad_u64_u32 v[2:3], null, 0xd2511f53, v5, 0
	v_mad_u64_u32 v[38:39], null, s13, s10, v[0:1]
	s_waitcnt_depctr 0xfff
	v_fma_f32 v6, -v45, v46, 1.0
	s_lshl_b32 s14, s11, 1
	v_xor3_b32 v7, v34, v37, v4
	s_add_i32 s15, s15, s14
	v_xor3_b32 v3, v35, v3, v36
	v_fmac_f32_e32 v46, v6, v46
	v_add_co_u32 v36, null, 0xdb3d7428, v40
	v_mad_u64_u32 v[4:5], null, 0xcd9e8d57, v7, 0
	v_mad_u64_u32 v[6:7], null, s16, s10, v[0:1]
	s_delay_alu instid0(VALU_DEP_4)
	v_mul_f32_e32 v7, v47, v46
	v_mad_u64_u32 v[41:42], null, 0xcd9e8d57, v3, 0
	s_waitcnt lgkmcnt(0)
	v_mul_lo_u32 v37, s12, v12
	v_xor3_b32 v1, v17, v5, v1
	v_fma_f32 v5, -v45, v7, v47
	v_mul_lo_u32 v38, s12, v38
	s_mul_i32 s11, s11, s12
	v_mov_b32_e32 v33, v10
	v_mad_u64_u32 v[43:44], null, 0xd2511f53, v1, 0
	v_fmac_f32_e32 v7, v5, v46
	v_mad_u64_u32 v[39:40], null, s15, s10, v[0:1]
	v_xor3_b32 v3, v26, v42, v4
	v_mov_b32_e32 v42, v11
	s_delay_alu instid0(VALU_DEP_4)
	v_fma_f32 v0, -v45, v7, v47
	v_xor3_b32 v2, v36, v44, v2
	v_mul_lo_u32 v40, s12, v6
	s_mul_i32 s11, s11, s10
	v_mul_lo_u32 v39, s12, v39
	v_div_fmas_f32 v7, v0, v46, v7
	v_mad_u64_u32 v[4:5], null, 0xcd9e8d57, v2, 0
	v_mad_u64_u32 v[0:1], null, 0xd2511f53, v3, 0
	s_delay_alu instid0(VALU_DEP_3) | instskip(SKIP_3) | instid1(VALU_DEP_3)
	v_div_fixup_f32 v2, v7, v32, v13
	s_mul_i32 s10, s8, 3
	s_lshl_b32 s11, s11, 2
	s_mov_b32 s12, 0
	v_xor3_b32 v3, v5, v41, v15
	v_ceil_f32_e32 v2, v2
	s_delay_alu instid0(VALU_DEP_4) | instskip(SKIP_1) | instid1(VALU_DEP_3)
	v_mov_b32_e32 v6, v0
	v_xor3_b32 v5, v1, v43, v16
	v_cvt_i32_f32_e32 v41, v2
	s_branch .LBB0_8
.LBB0_7:                                ;   in Loop: Header=BB0_8 Depth=1
	s_or_b32 exec_lo, exec_lo, s13
	v_add_co_u32 v10, vcc_lo, v10, s9
	v_add_co_ci_u32_e32 v11, vcc_lo, 0, v11, vcc_lo
	v_mov_b32_e32 v3, v12
	s_add_i32 s12, s12, s11
	s_waitcnt_vscnt null, 0x0
	s_delay_alu instid0(VALU_DEP_2)
	v_cmp_le_i64_e32 vcc_lo, s[2:3], v[10:11]
	s_barrier
	v_mov_b32_e32 v6, v3
	v_dual_mov_b32 v5, v2 :: v_dual_mov_b32 v4, v1
	v_mov_b32_e32 v3, v0
	s_or_b32 s0, vcc_lo, s0
	buffer_gl0_inv
	s_and_not1_b32 exec_lo, exec_lo, s0
	s_cbranch_execz .LBB0_26
.LBB0_8:                                ; =>This Inner Loop Header: Depth=1
	v_add_co_u32 v21, vcc_lo, v21, 1
	s_delay_alu instid0(VALU_DEP_1) | instskip(SKIP_2) | instid1(VALU_DEP_1)
	v_cndmask_b32_e64 v0, 0, 1, vcc_lo
	v_add_co_ci_u32_e32 v22, vcc_lo, 0, v22, vcc_lo
	s_mov_b32 s13, exec_lo
	v_cmp_eq_u32_e32 vcc_lo, 0, v22
	s_delay_alu instid0(VALU_DEP_3) | instskip(NEXT) | instid1(VALU_DEP_1)
	v_cndmask_b32_e32 v0, 0, v0, vcc_lo
	v_add_nc_u32_e32 v33, v0, v33
	s_delay_alu instid0(VALU_DEP_1) | instskip(SKIP_2) | instid1(VALU_DEP_2)
	v_cmp_eq_u32_e32 vcc_lo, 0, v33
	v_cndmask_b32_e32 v0, 0, v0, vcc_lo
	v_mad_u64_u32 v[12:13], null, 0xcd9e8d57, v33, 0
	v_add_nc_u32_e32 v42, v0, v42
	v_mad_u64_u32 v[0:1], null, 0xd2511f53, v21, 0
	s_delay_alu instid0(VALU_DEP_3) | instskip(NEXT) | instid1(VALU_DEP_2)
	v_xor3_b32 v7, v13, v8, v22
	v_xor_b32_e32 v1, v1, v9
	s_delay_alu instid0(VALU_DEP_1) | instskip(NEXT) | instid1(VALU_DEP_3)
	v_xor_b32_e32 v13, v42, v1
	v_mad_u64_u32 v[1:2], null, 0xd2511f53, v7, 0
	s_delay_alu instid0(VALU_DEP_2) | instskip(NEXT) | instid1(VALU_DEP_2)
	v_mad_u64_u32 v[43:44], null, 0xcd9e8d57, v13, 0
	v_xor3_b32 v0, v27, v2, v0
	s_delay_alu instid0(VALU_DEP_2) | instskip(NEXT) | instid1(VALU_DEP_2)
	v_xor3_b32 v2, v20, v44, v12
	v_mad_u64_u32 v[12:13], null, 0xcd9e8d57, v0, 0
	s_delay_alu instid0(VALU_DEP_2) | instskip(NEXT) | instid1(VALU_DEP_2)
	v_mad_u64_u32 v[44:45], null, 0xd2511f53, v2, 0
	v_xor3_b32 v2, v23, v13, v43
	s_delay_alu instid0(VALU_DEP_2) | instskip(NEXT) | instid1(VALU_DEP_2)
	v_xor3_b32 v7, v28, v45, v1
	;; [unrolled: 6-line block ×9, first 2 shown]
	v_mov_b32_e32 v2, v7
	v_cmpx_lt_i32_e32 1, v14
	s_xor_b32 s13, exec_lo, s13
	s_cbranch_execnz .LBB0_18
; %bb.9:                                ;   in Loop: Header=BB0_8 Depth=1
	s_and_not1_saveexec_b32 s13, s13
	s_cbranch_execnz .LBB0_23
.LBB0_10:                               ;   in Loop: Header=BB0_8 Depth=1
	s_or_b32 exec_lo, exec_lo, s13
	s_delay_alu instid0(SALU_CYCLE_1)
	s_mov_b32 s13, exec_lo
	v_cmpx_gt_i64_e64 s[4:5], v[10:11]
	s_cbranch_execz .LBB0_12
.LBB0_11:                               ;   in Loop: Header=BB0_8 Depth=1
	v_lshrrev_b32_e32 v4, 11, v4
	s_delay_alu instid0(VALU_DEP_1) | instskip(SKIP_1) | instid1(VALU_DEP_2)
	v_cvt_f64_u32_e32 v[43:44], v4
	v_cvt_f64_u32_e32 v[3:4], v3
	v_ldexp_f64 v[43:44], v[43:44], 32
	s_delay_alu instid0(VALU_DEP_1) | instskip(NEXT) | instid1(VALU_DEP_1)
	v_add_f64 v[3:4], v[43:44], v[3:4]
	v_fma_f64 v[3:4], 0x3ca00000, v[3:4], 0x3ca00000
	s_delay_alu instid0(VALU_DEP_1) | instskip(NEXT) | instid1(VALU_DEP_1)
	v_cvt_f32_f64_e32 v3, v[3:4]
	v_cmp_gt_f32_e32 vcc_lo, 0x800000, v3
	v_cndmask_b32_e64 v4, 1.0, 0x4f800000, vcc_lo
	s_delay_alu instid0(VALU_DEP_1) | instskip(NEXT) | instid1(VALU_DEP_1)
	v_mul_f32_e32 v3, v3, v4
	v_log_f32_e32 v3, v3
	s_waitcnt_depctr 0xfff
	v_mul_f32_e32 v4, 0x3f317217, v3
	s_delay_alu instid0(VALU_DEP_1) | instskip(NEXT) | instid1(VALU_DEP_1)
	v_fma_f32 v7, 0x3f317217, v3, -v4
	v_fmac_f32_e32 v7, 0x3377d1cf, v3
	s_delay_alu instid0(VALU_DEP_1) | instskip(SKIP_2) | instid1(VALU_DEP_3)
	v_add_f32_e32 v4, v4, v7
	v_cndmask_b32_e64 v7, 0, 0x41b17218, vcc_lo
	v_cmp_gt_f32_e64 vcc_lo, 0x7f800000, |v3|
	v_cndmask_b32_e32 v3, v3, v4, vcc_lo
	s_delay_alu instid0(VALU_DEP_1) | instskip(NEXT) | instid1(VALU_DEP_1)
	v_sub_f32_e32 v3, v3, v7
	v_div_scale_f32 v4, null, v32, v32, v3
	s_delay_alu instid0(VALU_DEP_1) | instskip(SKIP_2) | instid1(VALU_DEP_1)
	v_rcp_f32_e32 v7, v4
	s_waitcnt_depctr 0xfff
	v_fma_f32 v13, -v4, v7, 1.0
	v_fmac_f32_e32 v7, v13, v7
	v_div_scale_f32 v13, vcc_lo, v3, v32, v3
	s_delay_alu instid0(VALU_DEP_1) | instskip(NEXT) | instid1(VALU_DEP_1)
	v_mul_f32_e32 v43, v13, v7
	v_fma_f32 v44, -v4, v43, v13
	s_delay_alu instid0(VALU_DEP_1) | instskip(NEXT) | instid1(VALU_DEP_1)
	v_fmac_f32_e32 v43, v44, v7
	v_fma_f32 v4, -v4, v43, v13
	s_delay_alu instid0(VALU_DEP_1) | instskip(SKIP_1) | instid1(VALU_DEP_2)
	v_div_fmas_f32 v4, v4, v7, v43
	v_add_nc_u32_e32 v7, s12, v37
	v_div_fixup_f32 v3, v4, v32, v3
	s_delay_alu instid0(VALU_DEP_2) | instskip(NEXT) | instid1(VALU_DEP_2)
	v_ashrrev_i32_e32 v4, 31, v7
	v_ceil_f32_e32 v13, v3
	v_add_co_u32 v3, vcc_lo, s6, v7
	s_delay_alu instid0(VALU_DEP_3) | instskip(NEXT) | instid1(VALU_DEP_3)
	v_add_co_ci_u32_e32 v4, vcc_lo, s7, v4, vcc_lo
	v_cvt_i32_f32_e32 v7, v13
	global_store_b8 v[3:4], v7, off
.LBB0_12:                               ;   in Loop: Header=BB0_8 Depth=1
	s_or_b32 exec_lo, exec_lo, s13
	v_add_co_u32 v3, vcc_lo, s8, v10
	v_add_co_ci_u32_e32 v4, vcc_lo, 0, v11, vcc_lo
	s_mov_b32 s13, exec_lo
	s_delay_alu instid0(VALU_DEP_1)
	v_cmpx_gt_i64_e64 s[4:5], v[3:4]
	s_cbranch_execz .LBB0_14
; %bb.13:                               ;   in Loop: Header=BB0_8 Depth=1
	v_lshrrev_b32_e32 v3, 11, v6
	v_cvt_f64_u32_e32 v[5:6], v5
	s_delay_alu instid0(VALU_DEP_2) | instskip(NEXT) | instid1(VALU_DEP_1)
	v_cvt_f64_u32_e32 v[3:4], v3
	v_ldexp_f64 v[3:4], v[3:4], 32
	s_delay_alu instid0(VALU_DEP_1) | instskip(NEXT) | instid1(VALU_DEP_1)
	v_add_f64 v[3:4], v[3:4], v[5:6]
	v_fma_f64 v[3:4], 0x3ca00000, v[3:4], 0x3ca00000
	s_delay_alu instid0(VALU_DEP_1) | instskip(NEXT) | instid1(VALU_DEP_1)
	v_cvt_f32_f64_e32 v3, v[3:4]
	v_cmp_gt_f32_e32 vcc_lo, 0x800000, v3
	v_cndmask_b32_e64 v4, 1.0, 0x4f800000, vcc_lo
	s_delay_alu instid0(VALU_DEP_1) | instskip(NEXT) | instid1(VALU_DEP_1)
	v_mul_f32_e32 v3, v3, v4
	v_log_f32_e32 v3, v3
	s_waitcnt_depctr 0xfff
	v_mul_f32_e32 v4, 0x3f317217, v3
	s_delay_alu instid0(VALU_DEP_1) | instskip(NEXT) | instid1(VALU_DEP_1)
	v_fma_f32 v5, 0x3f317217, v3, -v4
	v_fmac_f32_e32 v5, 0x3377d1cf, v3
	s_delay_alu instid0(VALU_DEP_1) | instskip(SKIP_2) | instid1(VALU_DEP_3)
	v_add_f32_e32 v4, v4, v5
	v_cndmask_b32_e64 v5, 0, 0x41b17218, vcc_lo
	v_cmp_gt_f32_e64 vcc_lo, 0x7f800000, |v3|
	v_cndmask_b32_e32 v3, v3, v4, vcc_lo
	s_delay_alu instid0(VALU_DEP_1) | instskip(NEXT) | instid1(VALU_DEP_1)
	v_sub_f32_e32 v3, v3, v5
	v_div_scale_f32 v4, null, v32, v32, v3
	s_delay_alu instid0(VALU_DEP_1) | instskip(SKIP_2) | instid1(VALU_DEP_1)
	v_rcp_f32_e32 v5, v4
	s_waitcnt_depctr 0xfff
	v_fma_f32 v6, -v4, v5, 1.0
	v_fmac_f32_e32 v5, v6, v5
	v_div_scale_f32 v6, vcc_lo, v3, v32, v3
	s_delay_alu instid0(VALU_DEP_1) | instskip(NEXT) | instid1(VALU_DEP_1)
	v_mul_f32_e32 v7, v6, v5
	v_fma_f32 v13, -v4, v7, v6
	s_delay_alu instid0(VALU_DEP_1) | instskip(NEXT) | instid1(VALU_DEP_1)
	v_fmac_f32_e32 v7, v13, v5
	v_fma_f32 v4, -v4, v7, v6
	s_delay_alu instid0(VALU_DEP_1) | instskip(SKIP_1) | instid1(VALU_DEP_2)
	v_div_fmas_f32 v4, v4, v5, v7
	v_add_nc_u32_e32 v5, s12, v40
	v_div_fixup_f32 v3, v4, v32, v3
	s_delay_alu instid0(VALU_DEP_2) | instskip(NEXT) | instid1(VALU_DEP_2)
	v_ashrrev_i32_e32 v4, 31, v5
	v_ceil_f32_e32 v6, v3
	v_add_co_u32 v3, vcc_lo, s6, v5
	s_delay_alu instid0(VALU_DEP_3) | instskip(NEXT) | instid1(VALU_DEP_3)
	v_add_co_ci_u32_e32 v4, vcc_lo, s7, v4, vcc_lo
	v_cvt_i32_f32_e32 v5, v6
	global_store_b8 v[3:4], v5, off
.LBB0_14:                               ;   in Loop: Header=BB0_8 Depth=1
	s_or_b32 exec_lo, exec_lo, s13
	v_add_co_u32 v3, vcc_lo, s1, v10
	v_add_co_ci_u32_e32 v4, vcc_lo, 0, v11, vcc_lo
	s_mov_b32 s13, exec_lo
	s_delay_alu instid0(VALU_DEP_1)
	v_cmpx_gt_i64_e64 s[4:5], v[3:4]
	s_cbranch_execz .LBB0_16
; %bb.15:                               ;   in Loop: Header=BB0_8 Depth=1
	v_add_nc_u32_e32 v3, s12, v39
	s_delay_alu instid0(VALU_DEP_1) | instskip(SKIP_1) | instid1(VALU_DEP_2)
	v_ashrrev_i32_e32 v4, 31, v3
	v_add_co_u32 v3, vcc_lo, s6, v3
	v_add_co_ci_u32_e32 v4, vcc_lo, s7, v4, vcc_lo
	global_store_b8 v[3:4], v41, off
.LBB0_16:                               ;   in Loop: Header=BB0_8 Depth=1
	s_or_b32 exec_lo, exec_lo, s13
	v_add_co_u32 v3, vcc_lo, s10, v10
	v_add_co_ci_u32_e32 v4, vcc_lo, 0, v11, vcc_lo
	s_mov_b32 s13, exec_lo
	s_delay_alu instid0(VALU_DEP_1)
	v_cmpx_gt_i64_e64 s[4:5], v[3:4]
	s_cbranch_execz .LBB0_7
; %bb.17:                               ;   in Loop: Header=BB0_8 Depth=1
	v_add_nc_u32_e32 v3, s12, v38
	s_delay_alu instid0(VALU_DEP_1) | instskip(SKIP_1) | instid1(VALU_DEP_2)
	v_ashrrev_i32_e32 v4, 31, v3
	v_add_co_u32 v3, vcc_lo, s6, v3
	v_add_co_ci_u32_e32 v4, vcc_lo, s7, v4, vcc_lo
	global_store_b8 v[3:4], v41, off
	s_branch .LBB0_7
.LBB0_18:                               ;   in Loop: Header=BB0_8 Depth=1
	s_mov_b32 s14, exec_lo
	v_cmpx_lt_i32_e32 2, v14
	s_xor_b32 s14, exec_lo, s14
; %bb.19:                               ;   in Loop: Header=BB0_8 Depth=1
	v_dual_mov_b32 v4, v6 :: v_dual_mov_b32 v5, v0
	v_mov_b32_e32 v6, v1
	s_delay_alu instid0(VALU_DEP_2) | instskip(NEXT) | instid1(VALU_DEP_3)
	v_mov_b32_e32 v3, v4
	v_mov_b32_e32 v4, v5
	s_delay_alu instid0(VALU_DEP_3)
	v_mov_b32_e32 v5, v6
	v_mov_b32_e32 v6, v7
; %bb.20:                               ;   in Loop: Header=BB0_8 Depth=1
	s_and_not1_saveexec_b32 s14, s14
; %bb.21:                               ;   in Loop: Header=BB0_8 Depth=1
	s_delay_alu instid0(VALU_DEP_1)
	v_dual_mov_b32 v3, v5 :: v_dual_mov_b32 v4, v6
	v_dual_mov_b32 v5, v0 :: v_dual_mov_b32 v6, v1
; %bb.22:                               ;   in Loop: Header=BB0_8 Depth=1
	s_or_b32 exec_lo, exec_lo, s14
	s_and_not1_saveexec_b32 s13, s13
	s_cbranch_execz .LBB0_10
.LBB0_23:                               ;   in Loop: Header=BB0_8 Depth=1
	s_mov_b32 s14, exec_lo
	v_cmpx_eq_u32_e32 1, v14
; %bb.24:                               ;   in Loop: Header=BB0_8 Depth=1
	v_dual_mov_b32 v3, v4 :: v_dual_mov_b32 v4, v5
	v_dual_mov_b32 v5, v6 :: v_dual_mov_b32 v6, v0
; %bb.25:                               ;   in Loop: Header=BB0_8 Depth=1
	s_or_b32 exec_lo, exec_lo, s14
	s_delay_alu instid0(SALU_CYCLE_1) | instskip(NEXT) | instid1(SALU_CYCLE_1)
	s_or_b32 exec_lo, exec_lo, s13
	s_mov_b32 s13, exec_lo
	v_cmpx_gt_i64_e64 s[4:5], v[10:11]
	s_cbranch_execnz .LBB0_11
	s_branch .LBB0_12
.LBB0_26:
	s_endpgm
.LBB0_27:
                                        ; implicit-def: $sgpr2_sgpr3
	s_branch .LBB0_4
	.section	.rodata,"a",@progbits
	.p2align	6, 0x0
	.amdhsa_kernel _ZN2at6native12_GLOBAL__N_143distribution_elementwise_grid_stride_kernelIfLi4EZNS0_9templates4cuda21uniform_and_transformIhfPNS_17CUDAGeneratorImplEZZZNS4_16geometric_kernelIS7_EEvRNS_18TensorIteratorBaseEdT_ENKUlvE_clEvENKUlvE_clEvEUlfE_EEvSA_T1_T2_EUlP25hiprandStatePhilox4_32_10E_ZNS1_27distribution_nullary_kernelIhf15HIP_vector_typeIdLj2EES7_SJ_SE_EEvSA_SG_RKT3_T4_EUlifE_EEvlNS_15PhiloxCudaStateESF_SG_
		.amdhsa_group_segment_fixed_size 0
		.amdhsa_private_segment_fixed_size 0
		.amdhsa_kernarg_size 328
		.amdhsa_user_sgpr_count 15
		.amdhsa_user_sgpr_dispatch_ptr 0
		.amdhsa_user_sgpr_queue_ptr 0
		.amdhsa_user_sgpr_kernarg_segment_ptr 1
		.amdhsa_user_sgpr_dispatch_id 0
		.amdhsa_user_sgpr_private_segment_size 0
		.amdhsa_wavefront_size32 1
		.amdhsa_uses_dynamic_stack 0
		.amdhsa_enable_private_segment 0
		.amdhsa_system_sgpr_workgroup_id_x 1
		.amdhsa_system_sgpr_workgroup_id_y 0
		.amdhsa_system_sgpr_workgroup_id_z 0
		.amdhsa_system_sgpr_workgroup_info 0
		.amdhsa_system_vgpr_workitem_id 0
		.amdhsa_next_free_vgpr 48
		.amdhsa_next_free_sgpr 23
		.amdhsa_reserve_vcc 1
		.amdhsa_float_round_mode_32 0
		.amdhsa_float_round_mode_16_64 0
		.amdhsa_float_denorm_mode_32 3
		.amdhsa_float_denorm_mode_16_64 3
		.amdhsa_dx10_clamp 1
		.amdhsa_ieee_mode 1
		.amdhsa_fp16_overflow 0
		.amdhsa_workgroup_processor_mode 1
		.amdhsa_memory_ordered 1
		.amdhsa_forward_progress 0
		.amdhsa_shared_vgpr_count 0
		.amdhsa_exception_fp_ieee_invalid_op 0
		.amdhsa_exception_fp_denorm_src 0
		.amdhsa_exception_fp_ieee_div_zero 0
		.amdhsa_exception_fp_ieee_overflow 0
		.amdhsa_exception_fp_ieee_underflow 0
		.amdhsa_exception_fp_ieee_inexact 0
		.amdhsa_exception_int_div_zero 0
	.end_amdhsa_kernel
	.section	.text._ZN2at6native12_GLOBAL__N_143distribution_elementwise_grid_stride_kernelIfLi4EZNS0_9templates4cuda21uniform_and_transformIhfPNS_17CUDAGeneratorImplEZZZNS4_16geometric_kernelIS7_EEvRNS_18TensorIteratorBaseEdT_ENKUlvE_clEvENKUlvE_clEvEUlfE_EEvSA_T1_T2_EUlP25hiprandStatePhilox4_32_10E_ZNS1_27distribution_nullary_kernelIhf15HIP_vector_typeIdLj2EES7_SJ_SE_EEvSA_SG_RKT3_T4_EUlifE_EEvlNS_15PhiloxCudaStateESF_SG_,"axG",@progbits,_ZN2at6native12_GLOBAL__N_143distribution_elementwise_grid_stride_kernelIfLi4EZNS0_9templates4cuda21uniform_and_transformIhfPNS_17CUDAGeneratorImplEZZZNS4_16geometric_kernelIS7_EEvRNS_18TensorIteratorBaseEdT_ENKUlvE_clEvENKUlvE_clEvEUlfE_EEvSA_T1_T2_EUlP25hiprandStatePhilox4_32_10E_ZNS1_27distribution_nullary_kernelIhf15HIP_vector_typeIdLj2EES7_SJ_SE_EEvSA_SG_RKT3_T4_EUlifE_EEvlNS_15PhiloxCudaStateESF_SG_,comdat
.Lfunc_end0:
	.size	_ZN2at6native12_GLOBAL__N_143distribution_elementwise_grid_stride_kernelIfLi4EZNS0_9templates4cuda21uniform_and_transformIhfPNS_17CUDAGeneratorImplEZZZNS4_16geometric_kernelIS7_EEvRNS_18TensorIteratorBaseEdT_ENKUlvE_clEvENKUlvE_clEvEUlfE_EEvSA_T1_T2_EUlP25hiprandStatePhilox4_32_10E_ZNS1_27distribution_nullary_kernelIhf15HIP_vector_typeIdLj2EES7_SJ_SE_EEvSA_SG_RKT3_T4_EUlifE_EEvlNS_15PhiloxCudaStateESF_SG_, .Lfunc_end0-_ZN2at6native12_GLOBAL__N_143distribution_elementwise_grid_stride_kernelIfLi4EZNS0_9templates4cuda21uniform_and_transformIhfPNS_17CUDAGeneratorImplEZZZNS4_16geometric_kernelIS7_EEvRNS_18TensorIteratorBaseEdT_ENKUlvE_clEvENKUlvE_clEvEUlfE_EEvSA_T1_T2_EUlP25hiprandStatePhilox4_32_10E_ZNS1_27distribution_nullary_kernelIhf15HIP_vector_typeIdLj2EES7_SJ_SE_EEvSA_SG_RKT3_T4_EUlifE_EEvlNS_15PhiloxCudaStateESF_SG_
                                        ; -- End function
	.section	.AMDGPU.csdata,"",@progbits
; Kernel info:
; codeLenInByte = 4180
; NumSgprs: 25
; NumVgprs: 48
; ScratchSize: 0
; MemoryBound: 0
; FloatMode: 240
; IeeeMode: 1
; LDSByteSize: 0 bytes/workgroup (compile time only)
; SGPRBlocks: 3
; VGPRBlocks: 5
; NumSGPRsForWavesPerEU: 25
; NumVGPRsForWavesPerEU: 48
; Occupancy: 16
; WaveLimiterHint : 0
; COMPUTE_PGM_RSRC2:SCRATCH_EN: 0
; COMPUTE_PGM_RSRC2:USER_SGPR: 15
; COMPUTE_PGM_RSRC2:TRAP_HANDLER: 0
; COMPUTE_PGM_RSRC2:TGID_X_EN: 1
; COMPUTE_PGM_RSRC2:TGID_Y_EN: 0
; COMPUTE_PGM_RSRC2:TGID_Z_EN: 0
; COMPUTE_PGM_RSRC2:TIDIG_COMP_CNT: 0
	.section	.text._ZN2at6native12_GLOBAL__N_143distribution_elementwise_grid_stride_kernelIfLi4EZNS0_9templates4cuda21uniform_and_transformIhfPNS_17CUDAGeneratorImplEZZZNS4_16geometric_kernelIS7_EEvRNS_18TensorIteratorBaseEdT_ENKUlvE_clEvENKUlvE_clEvEUlfE_EEvSA_T1_T2_EUlP25hiprandStatePhilox4_32_10E_ZNS1_27distribution_nullary_kernelIhf15HIP_vector_typeIdLj2EES7_SJ_SE_EEvSA_SG_RKT3_T4_EUlifE0_EEvlNS_15PhiloxCudaStateESF_SG_,"axG",@progbits,_ZN2at6native12_GLOBAL__N_143distribution_elementwise_grid_stride_kernelIfLi4EZNS0_9templates4cuda21uniform_and_transformIhfPNS_17CUDAGeneratorImplEZZZNS4_16geometric_kernelIS7_EEvRNS_18TensorIteratorBaseEdT_ENKUlvE_clEvENKUlvE_clEvEUlfE_EEvSA_T1_T2_EUlP25hiprandStatePhilox4_32_10E_ZNS1_27distribution_nullary_kernelIhf15HIP_vector_typeIdLj2EES7_SJ_SE_EEvSA_SG_RKT3_T4_EUlifE0_EEvlNS_15PhiloxCudaStateESF_SG_,comdat
	.globl	_ZN2at6native12_GLOBAL__N_143distribution_elementwise_grid_stride_kernelIfLi4EZNS0_9templates4cuda21uniform_and_transformIhfPNS_17CUDAGeneratorImplEZZZNS4_16geometric_kernelIS7_EEvRNS_18TensorIteratorBaseEdT_ENKUlvE_clEvENKUlvE_clEvEUlfE_EEvSA_T1_T2_EUlP25hiprandStatePhilox4_32_10E_ZNS1_27distribution_nullary_kernelIhf15HIP_vector_typeIdLj2EES7_SJ_SE_EEvSA_SG_RKT3_T4_EUlifE0_EEvlNS_15PhiloxCudaStateESF_SG_ ; -- Begin function _ZN2at6native12_GLOBAL__N_143distribution_elementwise_grid_stride_kernelIfLi4EZNS0_9templates4cuda21uniform_and_transformIhfPNS_17CUDAGeneratorImplEZZZNS4_16geometric_kernelIS7_EEvRNS_18TensorIteratorBaseEdT_ENKUlvE_clEvENKUlvE_clEvEUlfE_EEvSA_T1_T2_EUlP25hiprandStatePhilox4_32_10E_ZNS1_27distribution_nullary_kernelIhf15HIP_vector_typeIdLj2EES7_SJ_SE_EEvSA_SG_RKT3_T4_EUlifE0_EEvlNS_15PhiloxCudaStateESF_SG_
	.p2align	8
	.type	_ZN2at6native12_GLOBAL__N_143distribution_elementwise_grid_stride_kernelIfLi4EZNS0_9templates4cuda21uniform_and_transformIhfPNS_17CUDAGeneratorImplEZZZNS4_16geometric_kernelIS7_EEvRNS_18TensorIteratorBaseEdT_ENKUlvE_clEvENKUlvE_clEvEUlfE_EEvSA_T1_T2_EUlP25hiprandStatePhilox4_32_10E_ZNS1_27distribution_nullary_kernelIhf15HIP_vector_typeIdLj2EES7_SJ_SE_EEvSA_SG_RKT3_T4_EUlifE0_EEvlNS_15PhiloxCudaStateESF_SG_,@function
_ZN2at6native12_GLOBAL__N_143distribution_elementwise_grid_stride_kernelIfLi4EZNS0_9templates4cuda21uniform_and_transformIhfPNS_17CUDAGeneratorImplEZZZNS4_16geometric_kernelIS7_EEvRNS_18TensorIteratorBaseEdT_ENKUlvE_clEvENKUlvE_clEvEUlfE_EEvSA_T1_T2_EUlP25hiprandStatePhilox4_32_10E_ZNS1_27distribution_nullary_kernelIhf15HIP_vector_typeIdLj2EES7_SJ_SE_EEvSA_SG_RKT3_T4_EUlifE0_EEvlNS_15PhiloxCudaStateESF_SG_: ; @_ZN2at6native12_GLOBAL__N_143distribution_elementwise_grid_stride_kernelIfLi4EZNS0_9templates4cuda21uniform_and_transformIhfPNS_17CUDAGeneratorImplEZZZNS4_16geometric_kernelIS7_EEvRNS_18TensorIteratorBaseEdT_ENKUlvE_clEvENKUlvE_clEvEUlfE_EEvSA_T1_T2_EUlP25hiprandStatePhilox4_32_10E_ZNS1_27distribution_nullary_kernelIhf15HIP_vector_typeIdLj2EES7_SJ_SE_EEvSA_SG_RKT3_T4_EUlifE0_EEvlNS_15PhiloxCudaStateESF_SG_
; %bb.0:
	s_clause 0x2
	s_load_b64 s[4:5], s[0:1], 0x10
	s_load_b128 s[16:19], s[0:1], 0x0
	s_load_b32 s2, s[0:1], 0x20
	s_waitcnt lgkmcnt(0)
	v_dual_mov_b32 v2, s4 :: v_dual_mov_b32 v3, s5
	v_dual_mov_b32 v8, s18 :: v_dual_mov_b32 v9, s19
	s_bitcmp0_b32 s2, 0
	s_mov_b32 s2, 0
	s_cbranch_scc1 .LBB1_2
; %bb.1:
	v_dual_mov_b32 v1, s4 :: v_dual_mov_b32 v2, s5
	v_dual_mov_b32 v4, s18 :: v_dual_mov_b32 v5, s19
	s_load_b64 s[4:5], s[0:1], 0x18
	flat_load_b64 v[2:3], v[1:2]
	flat_load_b64 v[8:9], v[4:5]
	s_waitcnt vmcnt(1) lgkmcnt(0)
	v_add_co_u32 v2, vcc_lo, v2, s4
	v_add_co_ci_u32_e32 v3, vcc_lo, s5, v3, vcc_lo
.LBB1_2:
	s_clause 0x1
	s_load_b32 s3, s[0:1], 0x154
	s_load_b32 s4, s[0:1], 0x148
	s_waitcnt lgkmcnt(0)
	s_and_b32 s5, s3, 0xffff
	s_add_u32 s6, s16, -1
	s_mul_i32 s24, s4, s5
	s_addc_u32 s3, s17, -1
	s_lshl_b32 s25, s24, 2
	s_cmp_lg_u64 s[2:3], 0
	s_cbranch_scc0 .LBB1_79
; %bb.3:
	v_cvt_f32_ubyte0_e32 v1, 0
	v_cvt_f32_u32_e32 v4, s25
	s_sub_u32 s8, 0, s25
	s_subb_u32 s9, 0, 0
	s_delay_alu instid0(VALU_DEP_1) | instskip(NEXT) | instid1(VALU_DEP_1)
	v_fmamk_f32 v1, v1, 0x4f800000, v4
	v_rcp_f32_e32 v1, v1
	s_waitcnt_depctr 0xfff
	v_mul_f32_e32 v1, 0x5f7ffffc, v1
	s_delay_alu instid0(VALU_DEP_1) | instskip(NEXT) | instid1(VALU_DEP_1)
	v_mul_f32_e32 v4, 0x2f800000, v1
	v_trunc_f32_e32 v4, v4
	s_delay_alu instid0(VALU_DEP_1) | instskip(SKIP_1) | instid1(VALU_DEP_2)
	v_fmamk_f32 v1, v4, 0xcf800000, v1
	v_cvt_u32_f32_e32 v4, v4
	v_cvt_u32_f32_e32 v1, v1
	s_delay_alu instid0(VALU_DEP_2) | instskip(NEXT) | instid1(VALU_DEP_2)
	v_readfirstlane_b32 s2, v4
	v_readfirstlane_b32 s7, v1
	s_delay_alu instid0(VALU_DEP_2) | instskip(NEXT) | instid1(VALU_DEP_1)
	s_mul_i32 s10, s8, s2
	s_mul_hi_u32 s12, s8, s7
	s_mul_i32 s11, s9, s7
	s_add_i32 s10, s12, s10
	s_mul_i32 s13, s8, s7
	s_add_i32 s10, s10, s11
	s_mul_hi_u32 s12, s7, s13
	s_mul_hi_u32 s14, s2, s13
	s_mul_i32 s11, s2, s13
	s_mul_hi_u32 s13, s7, s10
	s_mul_i32 s7, s7, s10
	s_mul_hi_u32 s18, s2, s10
	s_add_u32 s7, s12, s7
	s_addc_u32 s12, 0, s13
	s_add_u32 s7, s7, s11
	s_mul_i32 s10, s2, s10
	s_addc_u32 s7, s12, s14
	s_addc_u32 s11, s18, 0
	s_add_u32 s7, s7, s10
	s_addc_u32 s10, 0, s11
	v_add_co_u32 v1, s7, v1, s7
	s_delay_alu instid0(VALU_DEP_1) | instskip(SKIP_1) | instid1(VALU_DEP_1)
	s_cmp_lg_u32 s7, 0
	s_addc_u32 s2, s2, s10
	v_readfirstlane_b32 s7, v1
	s_mul_i32 s10, s8, s2
	s_delay_alu instid0(VALU_DEP_1)
	s_mul_hi_u32 s11, s8, s7
	s_mul_i32 s9, s9, s7
	s_add_i32 s10, s11, s10
	s_mul_i32 s8, s8, s7
	s_add_i32 s10, s10, s9
	s_mul_hi_u32 s11, s2, s8
	s_mul_i32 s12, s2, s8
	s_mul_hi_u32 s8, s7, s8
	s_mul_hi_u32 s13, s7, s10
	s_mul_i32 s7, s7, s10
	s_mul_hi_u32 s9, s2, s10
	s_add_u32 s7, s8, s7
	s_addc_u32 s8, 0, s13
	s_add_u32 s7, s7, s12
	s_mul_i32 s10, s2, s10
	s_addc_u32 s7, s8, s11
	s_addc_u32 s8, s9, 0
	s_add_u32 s7, s7, s10
	s_addc_u32 s8, 0, s8
	v_add_co_u32 v1, s7, v1, s7
	s_delay_alu instid0(VALU_DEP_1) | instskip(SKIP_2) | instid1(VALU_DEP_1)
	s_cmp_lg_u32 s7, 0
	s_addc_u32 s7, s2, s8
	s_ashr_i32 s8, s3, 31
	v_readfirstlane_b32 s10, v1
	s_add_u32 s2, s6, s8
	s_mov_b32 s9, s8
	s_addc_u32 s3, s3, s8
	s_delay_alu instid0(SALU_CYCLE_1) | instskip(NEXT) | instid1(SALU_CYCLE_1)
	s_xor_b64 s[2:3], s[2:3], s[8:9]
	s_mul_i32 s12, s2, s7
	s_mul_hi_u32 s13, s2, s10
	s_mul_hi_u32 s11, s2, s7
	;; [unrolled: 1-line block ×3, first 2 shown]
	s_mul_i32 s10, s3, s10
	s_add_u32 s12, s13, s12
	s_addc_u32 s11, 0, s11
	s_mul_hi_u32 s14, s3, s7
	s_add_u32 s10, s12, s10
	s_mul_i32 s7, s3, s7
	s_addc_u32 s10, s11, s18
	s_addc_u32 s11, s14, 0
	s_add_u32 s7, s10, s7
	s_addc_u32 s10, 0, s11
	s_mul_i32 s12, s25, s7
	s_add_u32 s11, s7, 1
	v_sub_co_u32 v1, s2, s2, s12
	s_mul_hi_u32 s12, s25, s7
	s_addc_u32 s13, s10, 0
	s_mul_i32 s14, s25, s10
	s_delay_alu instid0(VALU_DEP_1)
	v_sub_co_u32 v4, s18, v1, s25
	s_add_u32 s19, s7, 2
	s_addc_u32 s20, s10, 0
	s_add_i32 s12, s12, s14
	s_cmp_lg_u32 s2, 0
	v_readfirstlane_b32 s2, v4
	s_subb_u32 s3, s3, s12
	s_cmp_lg_u32 s18, 0
	s_subb_u32 s12, s3, 0
	s_delay_alu instid0(VALU_DEP_1) | instskip(SKIP_4) | instid1(SALU_CYCLE_1)
	s_cmp_ge_u32 s2, s25
	s_cselect_b32 s2, -1, 0
	s_cmp_eq_u32 s12, 0
	v_readfirstlane_b32 s12, v1
	s_cselect_b32 s2, s2, -1
	s_cmp_lg_u32 s2, 0
	s_cselect_b32 s2, s19, s11
	s_cselect_b32 s11, s20, s13
	s_cmp_ge_u32 s12, s25
	s_cselect_b32 s12, -1, 0
	s_cmp_eq_u32 s3, 0
	s_cselect_b32 s3, s12, -1
	s_delay_alu instid0(SALU_CYCLE_1) | instskip(SKIP_2) | instid1(SALU_CYCLE_1)
	s_cmp_lg_u32 s3, 0
	s_cselect_b32 s3, s11, s10
	s_cselect_b32 s2, s2, s7
	s_xor_b64 s[2:3], s[2:3], s[8:9]
	s_delay_alu instid0(SALU_CYCLE_1)
	s_sub_u32 s2, s2, s8
	s_subb_u32 s3, s3, s8
	s_cbranch_execnz .LBB1_5
.LBB1_4:
	v_cvt_f32_u32_e32 v1, s25
	s_sub_i32 s3, 0, s25
	s_delay_alu instid0(VALU_DEP_1) | instskip(SKIP_2) | instid1(VALU_DEP_1)
	v_rcp_iflag_f32_e32 v1, v1
	s_waitcnt_depctr 0xfff
	v_mul_f32_e32 v1, 0x4f7ffffe, v1
	v_cvt_u32_f32_e32 v1, v1
	s_delay_alu instid0(VALU_DEP_1) | instskip(NEXT) | instid1(VALU_DEP_1)
	v_readfirstlane_b32 s2, v1
	s_mul_i32 s3, s3, s2
	s_delay_alu instid0(SALU_CYCLE_1) | instskip(NEXT) | instid1(SALU_CYCLE_1)
	s_mul_hi_u32 s3, s2, s3
	s_add_i32 s2, s2, s3
	s_delay_alu instid0(SALU_CYCLE_1) | instskip(NEXT) | instid1(SALU_CYCLE_1)
	s_mul_hi_u32 s2, s6, s2
	s_mul_i32 s3, s2, s25
	s_delay_alu instid0(SALU_CYCLE_1)
	s_sub_i32 s3, s6, s3
	s_add_i32 s6, s2, 1
	s_sub_i32 s7, s3, s25
	s_cmp_ge_u32 s3, s25
	s_cselect_b32 s2, s6, s2
	s_cselect_b32 s3, s7, s3
	s_add_i32 s6, s2, 1
	s_cmp_ge_u32 s3, s25
	s_mov_b32 s3, 0
	s_cselect_b32 s2, s6, s2
.LBB1_5:
	v_mov_b32_e32 v1, 0
	s_add_u32 s2, s2, 1
	s_addc_u32 s3, s3, 0
	s_mul_hi_u32 s6, s24, s2
	s_mul_i32 s3, s24, s3
	v_mad_u64_u32 v[10:11], null, s5, s15, v[0:1]
	s_mul_hi_u32 s4, s4, s5
	s_add_i32 s3, s6, s3
	s_mul_i32 s4, s4, s2
	s_mul_i32 s2, s24, s2
	s_add_i32 s3, s3, s4
	s_mov_b32 s4, exec_lo
	s_lshl_b64 s[2:3], s[2:3], 2
	s_delay_alu instid0(SALU_CYCLE_1)
	v_cmpx_gt_i64_e64 s[2:3], v[10:11]
	s_cbranch_execz .LBB1_78
; %bb.6:
	s_load_b128 s[12:15], s[0:1], 0x138
	s_mov_b32 s4, 0x3e9b6dac
	v_alignbit_b32 v22, v3, v2, 2
	v_lshrrev_b32_e32 v23, 2, v3
	v_log_f32_e32 v34, s0
	s_waitcnt vmcnt(0)
	v_add_co_u32 v21, null, 0x9e3779b9, v8
	v_add_co_u32 v24, null, 0x3c6ef372, v8
	;; [unrolled: 1-line block ×7, first 2 shown]
	s_add_u32 s18, s0, 48
	s_waitcnt lgkmcnt(0)
	v_cvt_f32_f64_e32 v7, s[14:15]
	s_load_b64 s[14:15], s[0:1], 0xf4
	s_addc_u32 s19, s1, 0
	s_mov_b32 s26, 0
	s_mul_i32 s33, s24, 3
	s_delay_alu instid0(VALU_DEP_1) | instskip(NEXT) | instid1(VALU_DEP_1)
	v_sub_f32_e32 v4, 1.0, v7
	v_cvt_f64_f32_e32 v[0:1], v4
	s_delay_alu instid0(VALU_DEP_1) | instskip(SKIP_1) | instid1(VALU_DEP_1)
	v_frexp_exp_i32_f64_e32 v0, v[0:1]
	v_frexp_mant_f32_e32 v1, v4
	v_cmp_gt_f32_e32 vcc_lo, 0x3f2aaaab, v1
	v_add_f32_e32 v1, -1.0, v4
	s_delay_alu instid0(VALU_DEP_1) | instskip(NEXT) | instid1(VALU_DEP_1)
	v_sub_f32_e32 v6, v1, v4
	v_add_f32_e32 v6, 1.0, v6
	v_sub_f32_e64 v1, -v7, v1
	s_delay_alu instid0(VALU_DEP_1) | instskip(SKIP_2) | instid1(VALU_DEP_2)
	v_add_f32_e32 v1, v1, v6
	v_subrev_co_ci_u32_e32 v0, vcc_lo, 0, v0, vcc_lo
	v_cmp_eq_f32_e32 vcc_lo, 0xff800000, v7
	v_sub_nc_u32_e32 v5, 0, v0
	s_delay_alu instid0(VALU_DEP_1) | instskip(SKIP_1) | instid1(VALU_DEP_2)
	v_ldexp_f32 v4, v4, v5
	v_ldexp_f32 v1, v1, v5
	v_add_f32_e32 v5, -1.0, v4
	v_add_f32_e32 v12, 1.0, v4
	s_delay_alu instid0(VALU_DEP_1) | instskip(NEXT) | instid1(VALU_DEP_1)
	v_add_f32_e32 v6, -1.0, v12
	v_dual_sub_f32 v6, v4, v6 :: v_dual_add_f32 v13, 1.0, v5
	s_delay_alu instid0(VALU_DEP_1) | instskip(NEXT) | instid1(VALU_DEP_2)
	v_add_f32_e32 v6, v1, v6
	v_sub_f32_e32 v4, v4, v13
	s_delay_alu instid0(VALU_DEP_1) | instskip(NEXT) | instid1(VALU_DEP_1)
	v_add_f32_e32 v1, v1, v4
	v_add_f32_e32 v14, v5, v1
	s_delay_alu instid0(VALU_DEP_1) | instskip(SKIP_1) | instid1(VALU_DEP_1)
	v_sub_f32_e32 v5, v14, v5
	v_add_f32_e32 v13, v12, v6
	v_rcp_f32_e32 v4, v13
	v_sub_f32_e32 v12, v13, v12
	s_waitcnt_depctr 0xfff
	v_mul_f32_e32 v15, v14, v4
	v_sub_f32_e32 v6, v6, v12
	s_delay_alu instid0(VALU_DEP_2) | instskip(NEXT) | instid1(VALU_DEP_1)
	v_mul_f32_e32 v16, v13, v15
	v_fma_f32 v12, v15, v13, -v16
	s_delay_alu instid0(VALU_DEP_1) | instskip(NEXT) | instid1(VALU_DEP_1)
	v_dual_fmac_f32 v12, v15, v6 :: v_dual_sub_f32 v1, v1, v5
	v_add_f32_e32 v17, v16, v12
	s_delay_alu instid0(VALU_DEP_1) | instskip(NEXT) | instid1(VALU_DEP_1)
	v_dual_sub_f32 v5, v17, v16 :: v_dual_sub_f32 v18, v14, v17
	v_dual_sub_f32 v5, v5, v12 :: v_dual_sub_f32 v14, v14, v18
	s_delay_alu instid0(VALU_DEP_1) | instskip(NEXT) | instid1(VALU_DEP_1)
	v_sub_f32_e32 v14, v14, v17
	v_add_f32_e32 v1, v1, v14
	s_delay_alu instid0(VALU_DEP_1) | instskip(NEXT) | instid1(VALU_DEP_1)
	v_add_f32_e32 v1, v5, v1
	v_add_f32_e32 v5, v18, v1
	s_delay_alu instid0(VALU_DEP_1) | instskip(SKIP_2) | instid1(VALU_DEP_3)
	v_mul_f32_e32 v12, v4, v5
	v_sub_f32_e32 v17, v18, v5
	v_add_co_u32 v18, null, 0x5384540f, v8
	v_mul_f32_e32 v14, v13, v12
	s_delay_alu instid0(VALU_DEP_1) | instskip(NEXT) | instid1(VALU_DEP_1)
	v_fma_f32 v13, v12, v13, -v14
	v_fmac_f32_e32 v13, v12, v6
	s_delay_alu instid0(VALU_DEP_1) | instskip(SKIP_1) | instid1(VALU_DEP_2)
	v_add_f32_e32 v6, v14, v13
	v_add_f32_e32 v1, v1, v17
	v_sub_f32_e32 v16, v5, v6
	s_delay_alu instid0(VALU_DEP_1) | instskip(NEXT) | instid1(VALU_DEP_1)
	v_sub_f32_e32 v5, v5, v16
	v_sub_f32_e32 v5, v5, v6
	s_delay_alu instid0(VALU_DEP_1) | instskip(SKIP_1) | instid1(VALU_DEP_1)
	v_add_f32_e32 v1, v1, v5
	v_dual_add_f32 v5, v15, v12 :: v_dual_sub_f32 v14, v6, v14
	v_sub_f32_e32 v6, v14, v13
	s_delay_alu instid0(VALU_DEP_1) | instskip(NEXT) | instid1(VALU_DEP_3)
	v_dual_mov_b32 v14, v9 :: v_dual_add_f32 v1, v6, v1
	v_sub_f32_e32 v6, v5, v15
	s_delay_alu instid0(VALU_DEP_2) | instskip(SKIP_1) | instid1(VALU_DEP_4)
	v_add_co_u32 v37, null, 0xdb3d7428, v14
	v_and_b32_e32 v15, 3, v2
	v_add_f32_e32 v1, v16, v1
	s_delay_alu instid0(VALU_DEP_4) | instskip(NEXT) | instid1(VALU_DEP_2)
	v_sub_f32_e32 v6, v12, v6
	v_mul_f32_e32 v1, v4, v1
	s_delay_alu instid0(VALU_DEP_1) | instskip(NEXT) | instid1(VALU_DEP_1)
	v_add_f32_e32 v1, v6, v1
	v_add_f32_e32 v4, v5, v1
	s_delay_alu instid0(VALU_DEP_1) | instskip(NEXT) | instid1(VALU_DEP_1)
	v_mul_f32_e32 v6, v4, v4
	v_dual_mul_f32 v13, v4, v6 :: v_dual_add_nc_u32 v16, 0x8ff34781, v8
	v_fmaak_f32 v12, s4, v6, 0x3ecc95a3
	s_load_b256 s[4:11], s[0:1], 0x30
	s_waitcnt lgkmcnt(0)
	v_cmp_gt_f32_e64 s11, 0x33800000, |v7|
	s_delay_alu instid0(VALU_DEP_2) | instskip(SKIP_2) | instid1(VALU_DEP_3)
	v_fmaak_f32 v6, v6, v12, 0x3f2aaada
	v_add_nc_u32_e32 v17, 0x96a522ad, v9
	v_ldexp_f32 v12, v4, 1
	v_mul_f32_e32 v6, v13, v6
	v_cvt_f32_i32_e32 v13, v0
	v_sub_f32_e32 v0, v4, v5
	s_delay_alu instid0(VALU_DEP_2) | instskip(NEXT) | instid1(VALU_DEP_1)
	v_dual_add_f32 v5, v12, v6 :: v_dual_mul_f32 v28, 0x3f317218, v13
	v_sub_f32_e32 v4, v5, v12
	s_delay_alu instid0(VALU_DEP_2) | instskip(SKIP_1) | instid1(SALU_CYCLE_1)
	v_fma_f32 v3, 0x3f317218, v13, -v28
	s_add_i32 s20, s4, -1
	s_cmp_gt_u32 s20, 1
	s_delay_alu instid0(VALU_DEP_2) | instskip(NEXT) | instid1(VALU_DEP_2)
	v_sub_f32_e32 v4, v6, v4
	v_fmamk_f32 v6, v13, 0xb102e308, v3
	v_sub_f32_e32 v2, v1, v0
	v_mad_u64_u32 v[0:1], null, 0xcd9e8d57, v10, 0
	s_delay_alu instid0(VALU_DEP_3) | instskip(NEXT) | instid1(VALU_DEP_3)
	v_add_f32_e32 v13, v28, v6
	v_ldexp_f32 v2, v2, 1
	s_delay_alu instid0(VALU_DEP_3) | instskip(NEXT) | instid1(VALU_DEP_2)
	v_xor3_b32 v1, v8, v1, v23
	v_add_f32_e32 v12, v2, v4
	v_mad_u64_u32 v[2:3], null, 0xd2511f53, v22, 0
	v_sub_f32_e32 v32, v13, v28
	v_add_co_u32 v28, null, 0xbb67ae85, v14
	s_delay_alu instid0(VALU_DEP_4) | instskip(NEXT) | instid1(VALU_DEP_4)
	v_add_f32_e32 v29, v5, v12
	v_xor_b32_e32 v30, v3, v9
	v_mad_u64_u32 v[3:4], null, 0xd2511f53, v1, 0
	s_delay_alu instid0(VALU_DEP_3) | instskip(SKIP_1) | instid1(VALU_DEP_4)
	v_add_f32_e32 v31, v13, v29
	v_sub_f32_e32 v5, v29, v5
	v_xor_b32_e32 v30, v30, v11
	s_delay_alu instid0(VALU_DEP_3) | instskip(NEXT) | instid1(VALU_DEP_3)
	v_sub_f32_e32 v1, v31, v13
	v_sub_f32_e32 v12, v12, v5
	s_delay_alu instid0(VALU_DEP_2) | instskip(SKIP_3) | instid1(VALU_DEP_4)
	v_sub_f32_e32 v33, v31, v1
	v_sub_f32_e32 v5, v29, v1
	v_xor3_b32 v29, v28, v4, v2
	v_mad_u64_u32 v[1:2], null, 0xcd9e8d57, v30, 0
	v_sub_f32_e32 v13, v13, v33
	v_add_co_u32 v30, null, 0x76cf5d0a, v14
	s_delay_alu instid0(VALU_DEP_2) | instskip(SKIP_4) | instid1(VALU_DEP_2)
	v_add_f32_e32 v13, v5, v13
	v_mad_u64_u32 v[4:5], null, 0xcd9e8d57, v29, 0
	v_mov_b32_e32 v29, v10
	v_sub_f32_e32 v6, v6, v32
	v_xor3_b32 v2, v21, v2, v0
	v_add_f32_e32 v32, v6, v12
	v_xor3_b32 v35, v24, v5, v1
	s_delay_alu instid0(VALU_DEP_3) | instskip(NEXT) | instid1(VALU_DEP_3)
	v_mad_u64_u32 v[0:1], null, 0xd2511f53, v2, 0
	v_add_f32_e32 v13, v32, v13
	s_delay_alu instid0(VALU_DEP_1) | instskip(NEXT) | instid1(VALU_DEP_1)
	v_dual_sub_f32 v33, v32, v6 :: v_dual_add_f32 v36, v31, v13
	v_sub_f32_e32 v2, v12, v33
	v_sub_f32_e32 v5, v32, v33
	v_xor3_b32 v3, v30, v1, v3
	v_add_co_u32 v33, null, 0xa9066899, v14
	v_sub_f32_e32 v32, v36, v31
	s_delay_alu instid0(VALU_DEP_4) | instskip(SKIP_2) | instid1(VALU_DEP_3)
	v_sub_f32_e32 v12, v6, v5
	v_mad_u64_u32 v[5:6], null, 0xd2511f53, v35, 0
	v_add_co_u32 v31, null, 0x32370b8f, v14
	v_add_f32_e32 v2, v2, v12
	v_dual_sub_f32 v12, v13, v32 :: v_dual_mul_f32 v13, 0x3f317217, v34
	v_add_co_u32 v32, null, 0xed9eba14, v14
	s_delay_alu instid0(VALU_DEP_4) | instskip(NEXT) | instid1(VALU_DEP_3)
	v_xor3_b32 v6, v31, v6, v0
	v_add_f32_e32 v12, v2, v12
	v_mad_u64_u32 v[0:1], null, 0xcd9e8d57, v3, 0
	v_fma_f32 v35, 0x3f317217, v34, -v13
	s_delay_alu instid0(VALU_DEP_4) | instskip(NEXT) | instid1(VALU_DEP_4)
	v_mad_u64_u32 v[2:3], null, 0xcd9e8d57, v6, 0
	v_add_f32_e32 v6, v36, v12
	v_add_co_u32 v36, null, 0x1fd5c5a3, v14
	v_xor3_b32 v4, v20, v1, v4
	v_fmac_f32_e32 v35, 0x3377d1cf, v34
	s_delay_alu instid0(VALU_DEP_4) | instskip(SKIP_3) | instid1(VALU_DEP_4)
	v_cndmask_b32_e64 v6, v6, -v7, vcc_lo
	v_cmp_nlt_f32_e32 vcc_lo, 1.0, v7
	v_xor3_b32 v12, v25, v3, v0
	v_mad_u64_u32 v[0:1], null, 0xd2511f53, v4, 0
	v_dual_add_f32 v13, v13, v35 :: v_dual_cndmask_b32 v6, 0x7fc00000, v6
	v_cmp_neq_f32_e32 vcc_lo, 1.0, v7
	s_delay_alu instid0(VALU_DEP_4) | instskip(SKIP_1) | instid1(VALU_DEP_4)
	v_mad_u64_u32 v[3:4], null, 0xd2511f53, v12, 0
	v_add_co_u32 v35, null, 0x646e171e, v14
	v_cndmask_b32_e32 v6, 0xff800000, v6, vcc_lo
	v_cmp_gt_f32_e64 vcc_lo, 0x7f800000, |v34|
	v_xor3_b32 v1, v32, v1, v5
	v_xor3_b32 v4, v33, v4, v0
	v_cndmask_b32_e32 v40, v34, v13, vcc_lo
	v_cndmask_b32_e64 v34, v6, -v7, s11
	s_delay_alu instid0(VALU_DEP_4) | instskip(NEXT) | instid1(VALU_DEP_4)
	v_mad_u64_u32 v[5:6], null, 0xcd9e8d57, v1, 0
	v_mad_u64_u32 v[0:1], null, 0xcd9e8d57, v4, 0
	s_delay_alu instid0(VALU_DEP_3) | instskip(SKIP_1) | instid1(VALU_DEP_4)
	v_div_scale_f32 v41, null, v34, v34, v40
	v_div_scale_f32 v43, vcc_lo, v40, v34, v40
	v_xor3_b32 v2, v19, v6, v2
	s_delay_alu instid0(VALU_DEP_3) | instskip(NEXT) | instid1(VALU_DEP_4)
	v_rcp_f32_e32 v42, v41
	v_xor3_b32 v4, v26, v1, v5
	s_cselect_b32 s11, -1, 0
	s_cmp_lg_u32 s4, 0
	v_mad_u64_u32 v[6:7], null, 0xd2511f53, v2, 0
	s_delay_alu instid0(VALU_DEP_2)
	v_mad_u64_u32 v[1:2], null, 0xd2511f53, v4, 0
	s_cselect_b32 s27, -1, 0
	s_add_u32 s0, s0, 0xf4
	s_waitcnt_depctr 0xfff
	v_fma_f32 v5, -v41, v42, 1.0
	s_addc_u32 s1, s1, 0
	v_xor3_b32 v7, v35, v7, v3
	s_min_u32 s21, s20, 15
	v_xor3_b32 v2, v36, v2, v6
	v_fmac_f32_e32 v42, v5, v42
	s_cmp_gt_u32 s4, 1
	v_mad_u64_u32 v[3:4], null, 0xcd9e8d57, v7, 0
	s_delay_alu instid0(VALU_DEP_3) | instskip(NEXT) | instid1(VALU_DEP_3)
	v_mad_u64_u32 v[12:13], null, 0xcd9e8d57, v2, 0
	v_mul_f32_e32 v5, v43, v42
	s_cselect_b32 s4, -1, 0
	s_add_i32 s21, s21, 1
	s_lshl_b32 s28, s24, 1
	s_delay_alu instid0(VALU_DEP_3) | instskip(SKIP_1) | instid1(VALU_DEP_4)
	v_xor3_b32 v0, v18, v4, v0
	v_fma_f32 v4, -v41, v5, v43
	v_xor3_b32 v2, v27, v13, v3
	s_and_b32 s29, s21, 3
	s_cmp_lg_u32 s20, 2
	v_mad_u64_u32 v[38:39], null, 0xd2511f53, v0, 0
	v_fmac_f32_e32 v5, v4, v42
	s_cselect_b32 s30, -1, 0
	s_and_b32 s31, s21, 28
	s_cmp_lg_u32 s29, 0
	s_delay_alu instid0(VALU_DEP_1) | instskip(NEXT) | instid1(VALU_DEP_3)
	v_fma_f32 v0, -v41, v5, v43
	v_xor3_b32 v3, v37, v39, v1
	v_mov_b32_e32 v39, v11
	s_cselect_b32 s34, -1, 0
	s_delay_alu instid0(VALU_DEP_3) | instskip(SKIP_2) | instid1(VALU_DEP_3)
	v_div_fmas_f32 v6, v0, v42, v5
	v_mad_u64_u32 v[0:1], null, 0xd2511f53, v2, 0
	v_mad_u64_u32 v[4:5], null, 0xcd9e8d57, v3, 0
	v_div_fixup_f32 v2, v6, v34, v40
	s_delay_alu instid0(VALU_DEP_3) | instskip(NEXT) | instid1(VALU_DEP_2)
	v_mov_b32_e32 v6, v0
	v_ceil_f32_e32 v2, v2
	s_delay_alu instid0(VALU_DEP_4) | instskip(SKIP_1) | instid1(VALU_DEP_3)
	v_xor3_b32 v3, v5, v12, v16
	v_xor3_b32 v5, v1, v38, v17
	v_cvt_i32_f32_e32 v38, v2
	s_branch .LBB1_9
.LBB1_7:                                ;   in Loop: Header=BB1_9 Depth=1
	global_store_b8 v4, v38, s[12:13]
.LBB1_8:                                ;   in Loop: Header=BB1_9 Depth=1
	s_or_b32 exec_lo, exec_lo, s35
	v_add_co_u32 v10, vcc_lo, v10, s25
	v_add_co_ci_u32_e32 v11, vcc_lo, 0, v11, vcc_lo
	v_mov_b32_e32 v3, v12
	s_waitcnt_vscnt null, 0x0
	s_barrier
	s_delay_alu instid0(VALU_DEP_2)
	v_cmp_le_i64_e32 vcc_lo, s[2:3], v[10:11]
	buffer_gl0_inv
	v_mov_b32_e32 v6, v3
	v_dual_mov_b32 v5, v2 :: v_dual_mov_b32 v4, v1
	v_mov_b32_e32 v3, v0
	s_or_b32 s26, vcc_lo, s26
	s_delay_alu instid0(SALU_CYCLE_1)
	s_and_not1_b32 exec_lo, exec_lo, s26
	s_cbranch_execz .LBB1_78
.LBB1_9:                                ; =>This Loop Header: Depth=1
                                        ;     Child Loop BB1_24 Depth 2
                                        ;     Child Loop BB1_29 Depth 2
	;; [unrolled: 1-line block ×8, first 2 shown]
	v_add_co_u32 v22, vcc_lo, v22, 1
	s_delay_alu instid0(VALU_DEP_1) | instskip(SKIP_2) | instid1(VALU_DEP_1)
	v_cndmask_b32_e64 v0, 0, 1, vcc_lo
	v_add_co_ci_u32_e32 v23, vcc_lo, 0, v23, vcc_lo
	s_mov_b32 s20, exec_lo
	v_cmp_eq_u32_e32 vcc_lo, 0, v23
	s_delay_alu instid0(VALU_DEP_3) | instskip(NEXT) | instid1(VALU_DEP_1)
	v_cndmask_b32_e32 v0, 0, v0, vcc_lo
	v_add_nc_u32_e32 v29, v0, v29
	s_delay_alu instid0(VALU_DEP_1) | instskip(SKIP_2) | instid1(VALU_DEP_2)
	v_cmp_eq_u32_e32 vcc_lo, 0, v29
	v_cndmask_b32_e32 v0, 0, v0, vcc_lo
	v_mad_u64_u32 v[12:13], null, 0xcd9e8d57, v29, 0
	v_add_nc_u32_e32 v39, v0, v39
	v_mad_u64_u32 v[0:1], null, 0xd2511f53, v22, 0
	s_delay_alu instid0(VALU_DEP_3) | instskip(NEXT) | instid1(VALU_DEP_2)
	v_xor3_b32 v7, v13, v8, v23
	v_xor_b32_e32 v1, v1, v9
	s_delay_alu instid0(VALU_DEP_1) | instskip(NEXT) | instid1(VALU_DEP_3)
	v_xor_b32_e32 v40, v39, v1
	v_mad_u64_u32 v[1:2], null, 0xd2511f53, v7, 0
	s_delay_alu instid0(VALU_DEP_2) | instskip(NEXT) | instid1(VALU_DEP_2)
	v_mad_u64_u32 v[13:14], null, 0xcd9e8d57, v40, 0
	v_xor3_b32 v0, v28, v2, v0
	s_delay_alu instid0(VALU_DEP_2) | instskip(NEXT) | instid1(VALU_DEP_2)
	v_xor3_b32 v2, v21, v14, v12
	v_mad_u64_u32 v[40:41], null, 0xcd9e8d57, v0, 0
	s_delay_alu instid0(VALU_DEP_2) | instskip(NEXT) | instid1(VALU_DEP_2)
	v_mad_u64_u32 v[42:43], null, 0xd2511f53, v2, 0
	v_xor3_b32 v2, v24, v41, v13
	s_delay_alu instid0(VALU_DEP_2) | instskip(NEXT) | instid1(VALU_DEP_2)
	v_xor3_b32 v7, v30, v43, v1
	;; [unrolled: 6-line block ×9, first 2 shown]
	v_mov_b32_e32 v2, v7
	v_cmpx_lt_i32_e32 1, v15
	s_xor_b32 s20, exec_lo, s20
	s_cbranch_execnz .LBB1_12
; %bb.10:                               ;   in Loop: Header=BB1_9 Depth=1
	s_and_not1_saveexec_b32 s20, s20
	s_cbranch_execnz .LBB1_17
.LBB1_11:                               ;   in Loop: Header=BB1_9 Depth=1
	s_or_b32 exec_lo, exec_lo, s20
	s_delay_alu instid0(SALU_CYCLE_1)
	s_mov_b32 s35, exec_lo
	v_cmpx_gt_i64_e64 s[16:17], v[10:11]
	s_cbranch_execnz .LBB1_20
	s_branch .LBB1_34
.LBB1_12:                               ;   in Loop: Header=BB1_9 Depth=1
	s_mov_b32 s21, exec_lo
	v_cmpx_lt_i32_e32 2, v15
	s_xor_b32 s21, exec_lo, s21
; %bb.13:                               ;   in Loop: Header=BB1_9 Depth=1
	v_dual_mov_b32 v4, v6 :: v_dual_mov_b32 v5, v0
	v_mov_b32_e32 v6, v1
	s_delay_alu instid0(VALU_DEP_2) | instskip(NEXT) | instid1(VALU_DEP_3)
	v_mov_b32_e32 v3, v4
	v_mov_b32_e32 v4, v5
	s_delay_alu instid0(VALU_DEP_3)
	v_mov_b32_e32 v5, v6
	v_mov_b32_e32 v6, v7
; %bb.14:                               ;   in Loop: Header=BB1_9 Depth=1
	s_and_not1_saveexec_b32 s21, s21
; %bb.15:                               ;   in Loop: Header=BB1_9 Depth=1
	s_delay_alu instid0(VALU_DEP_1)
	v_dual_mov_b32 v3, v5 :: v_dual_mov_b32 v4, v6
	v_dual_mov_b32 v5, v0 :: v_dual_mov_b32 v6, v1
; %bb.16:                               ;   in Loop: Header=BB1_9 Depth=1
	s_or_b32 exec_lo, exec_lo, s21
	s_and_not1_saveexec_b32 s20, s20
	s_cbranch_execz .LBB1_11
.LBB1_17:                               ;   in Loop: Header=BB1_9 Depth=1
	s_mov_b32 s21, exec_lo
	v_cmpx_eq_u32_e32 1, v15
; %bb.18:                               ;   in Loop: Header=BB1_9 Depth=1
	v_dual_mov_b32 v3, v4 :: v_dual_mov_b32 v4, v5
	v_dual_mov_b32 v5, v6 :: v_dual_mov_b32 v6, v0
; %bb.19:                               ;   in Loop: Header=BB1_9 Depth=1
	s_or_b32 exec_lo, exec_lo, s21
	s_delay_alu instid0(SALU_CYCLE_1) | instskip(NEXT) | instid1(SALU_CYCLE_1)
	s_or_b32 exec_lo, exec_lo, s20
	s_mov_b32 s35, exec_lo
	v_cmpx_gt_i64_e64 s[16:17], v[10:11]
	s_cbranch_execz .LBB1_34
.LBB1_20:                               ;   in Loop: Header=BB1_9 Depth=1
	s_and_not1_b32 vcc_lo, exec_lo, s11
	s_cbranch_vccnz .LBB1_26
; %bb.21:                               ;   in Loop: Header=BB1_9 Depth=1
	v_mov_b32_e32 v7, 0
	s_and_not1_b32 vcc_lo, exec_lo, s27
	s_cbranch_vccnz .LBB1_30
; %bb.22:                               ;   in Loop: Header=BB1_9 Depth=1
	s_and_not1_b32 vcc_lo, exec_lo, s30
	s_mov_b32 s20, 0
	s_cbranch_vccnz .LBB1_27
; %bb.23:                               ;   in Loop: Header=BB1_9 Depth=1
	v_mov_b32_e32 v7, 0
	v_mov_b32_e32 v13, v10
	s_mov_b32 s36, 0
	s_mov_b64 s[20:21], s[18:19]
	s_mov_b64 s[22:23], s[0:1]
.LBB1_24:                               ;   Parent Loop BB1_9 Depth=1
                                        ; =>  This Inner Loop Header: Depth=2
	s_clause 0x1
	s_load_b256 s[40:47], s[20:21], 0x4
	s_load_b128 s[48:51], s[20:21], 0x24
	s_load_b128 s[52:55], s[22:23], 0x0
	s_add_u32 s20, s20, 48
	s_addc_u32 s21, s21, 0
	s_add_i32 s36, s36, 4
	s_add_u32 s22, s22, 16
	s_addc_u32 s23, s23, 0
	s_cmp_lg_u32 s31, s36
	s_waitcnt lgkmcnt(0)
	v_mul_hi_u32 v14, s41, v13
	s_delay_alu instid0(VALU_DEP_1) | instskip(NEXT) | instid1(VALU_DEP_1)
	v_add_nc_u32_e32 v14, v13, v14
	v_lshrrev_b32_e32 v14, s42, v14
	s_delay_alu instid0(VALU_DEP_1) | instskip(SKIP_1) | instid1(VALU_DEP_2)
	v_mul_hi_u32 v40, s44, v14
	v_mul_lo_u32 v43, v14, s40
	v_add_nc_u32_e32 v40, v14, v40
	s_delay_alu instid0(VALU_DEP_2) | instskip(NEXT) | instid1(VALU_DEP_2)
	v_sub_nc_u32_e32 v43, v13, v43
	v_lshrrev_b32_e32 v40, s45, v40
	s_delay_alu instid0(VALU_DEP_2) | instskip(NEXT) | instid1(VALU_DEP_2)
	v_mul_lo_u32 v43, v43, s52
	v_mul_hi_u32 v41, s47, v40
	v_mul_lo_u32 v44, v40, s43
	s_delay_alu instid0(VALU_DEP_2) | instskip(NEXT) | instid1(VALU_DEP_2)
	v_add_nc_u32_e32 v41, v40, v41
	v_sub_nc_u32_e32 v14, v14, v44
	s_delay_alu instid0(VALU_DEP_2) | instskip(NEXT) | instid1(VALU_DEP_2)
	v_lshrrev_b32_e32 v41, s48, v41
	v_mul_lo_u32 v14, v14, s53
	s_delay_alu instid0(VALU_DEP_2) | instskip(NEXT) | instid1(VALU_DEP_2)
	v_mul_hi_u32 v42, s50, v41
	v_add3_u32 v7, v43, v7, v14
	s_delay_alu instid0(VALU_DEP_2) | instskip(NEXT) | instid1(VALU_DEP_1)
	v_add_nc_u32_e32 v42, v41, v42
	v_lshrrev_b32_e32 v13, s51, v42
	v_mul_lo_u32 v42, v41, s46
	s_delay_alu instid0(VALU_DEP_2) | instskip(NEXT) | instid1(VALU_DEP_2)
	v_mul_lo_u32 v45, v13, s49
	v_sub_nc_u32_e32 v40, v40, v42
	s_delay_alu instid0(VALU_DEP_2) | instskip(NEXT) | instid1(VALU_DEP_2)
	v_sub_nc_u32_e32 v41, v41, v45
	v_mul_lo_u32 v40, v40, s54
	s_delay_alu instid0(VALU_DEP_2) | instskip(NEXT) | instid1(VALU_DEP_1)
	v_mul_lo_u32 v41, v41, s55
	v_add3_u32 v7, v40, v7, v41
	s_cbranch_scc1 .LBB1_24
; %bb.25:                               ;   in Loop: Header=BB1_9 Depth=1
	s_mov_b32 s20, s31
	s_and_not1_b32 vcc_lo, exec_lo, s34
	s_cbranch_vccz .LBB1_28
	s_branch .LBB1_30
.LBB1_26:                               ;   in Loop: Header=BB1_9 Depth=1
                                        ; implicit-def: $vgpr7
	s_branch .LBB1_31
.LBB1_27:                               ;   in Loop: Header=BB1_9 Depth=1
	v_mov_b32_e32 v13, v10
	s_and_not1_b32 vcc_lo, exec_lo, s34
	s_cbranch_vccnz .LBB1_30
.LBB1_28:                               ;   in Loop: Header=BB1_9 Depth=1
	s_lshl_b32 s21, s20, 2
	s_mul_i32 s22, s20, 12
	s_add_u32 s20, s0, s21
	s_addc_u32 s21, s1, 0
	s_add_u32 s22, s18, s22
	s_addc_u32 s23, s19, 0
	s_mov_b32 s36, s29
	.p2align	6
.LBB1_29:                               ;   Parent Loop BB1_9 Depth=1
                                        ; =>  This Inner Loop Header: Depth=2
	s_clause 0x1
	s_load_b64 s[38:39], s[22:23], 0x4
	s_load_b32 s37, s[22:23], 0xc
	s_add_u32 s22, s22, 12
	s_addc_u32 s23, s23, 0
	s_waitcnt lgkmcnt(0)
	v_mul_hi_u32 v14, s39, v13
	s_load_b32 s39, s[20:21], 0x0
	s_add_u32 s20, s20, 4
	s_addc_u32 s21, s21, 0
	s_add_i32 s36, s36, -1
	s_delay_alu instid0(SALU_CYCLE_1) | instskip(NEXT) | instid1(VALU_DEP_1)
	s_cmp_lg_u32 s36, 0
	v_add_nc_u32_e32 v14, v13, v14
	s_delay_alu instid0(VALU_DEP_1) | instskip(NEXT) | instid1(VALU_DEP_1)
	v_lshrrev_b32_e32 v14, s37, v14
	v_mul_lo_u32 v40, v14, s38
	s_delay_alu instid0(VALU_DEP_1) | instskip(SKIP_1) | instid1(VALU_DEP_1)
	v_sub_nc_u32_e32 v13, v13, v40
	s_waitcnt lgkmcnt(0)
	v_mad_u64_u32 v[40:41], null, v13, s39, v[7:8]
	v_mov_b32_e32 v13, v14
	s_delay_alu instid0(VALU_DEP_2)
	v_mov_b32_e32 v7, v40
	s_cbranch_scc1 .LBB1_29
.LBB1_30:                               ;   in Loop: Header=BB1_9 Depth=1
	s_cbranch_execnz .LBB1_33
.LBB1_31:                               ;   in Loop: Header=BB1_9 Depth=1
	v_mul_hi_u32 v7, v10, s6
	s_and_not1_b32 vcc_lo, exec_lo, s4
	s_delay_alu instid0(VALU_DEP_1) | instskip(NEXT) | instid1(VALU_DEP_1)
	v_add_nc_u32_e32 v7, v7, v10
	v_lshrrev_b32_e32 v13, s7, v7
	s_delay_alu instid0(VALU_DEP_1) | instskip(NEXT) | instid1(VALU_DEP_1)
	v_mul_lo_u32 v7, v13, s5
	v_sub_nc_u32_e32 v7, v10, v7
	s_delay_alu instid0(VALU_DEP_1)
	v_mul_lo_u32 v7, v7, s14
	s_cbranch_vccnz .LBB1_33
; %bb.32:                               ;   in Loop: Header=BB1_9 Depth=1
	v_mul_hi_u32 v14, s9, v13
	s_delay_alu instid0(VALU_DEP_1) | instskip(NEXT) | instid1(VALU_DEP_1)
	v_add_nc_u32_e32 v14, v13, v14
	v_lshrrev_b32_e32 v14, s10, v14
	s_delay_alu instid0(VALU_DEP_1) | instskip(NEXT) | instid1(VALU_DEP_1)
	v_mul_lo_u32 v14, v14, s8
	v_sub_nc_u32_e32 v40, v13, v14
	s_delay_alu instid0(VALU_DEP_1) | instskip(NEXT) | instid1(VALU_DEP_1)
	v_mad_u64_u32 v[13:14], null, v40, s15, v[7:8]
	v_mov_b32_e32 v7, v13
.LBB1_33:                               ;   in Loop: Header=BB1_9 Depth=1
	v_lshrrev_b32_e32 v4, 11, v4
	s_delay_alu instid0(VALU_DEP_1) | instskip(SKIP_1) | instid1(VALU_DEP_2)
	v_cvt_f64_u32_e32 v[13:14], v4
	v_cvt_f64_u32_e32 v[3:4], v3
	v_ldexp_f64 v[13:14], v[13:14], 32
	s_delay_alu instid0(VALU_DEP_1) | instskip(NEXT) | instid1(VALU_DEP_1)
	v_add_f64 v[3:4], v[13:14], v[3:4]
	v_fma_f64 v[3:4], 0x3ca00000, v[3:4], 0x3ca00000
	s_delay_alu instid0(VALU_DEP_1) | instskip(NEXT) | instid1(VALU_DEP_1)
	v_cvt_f32_f64_e32 v3, v[3:4]
	v_cmp_gt_f32_e32 vcc_lo, 0x800000, v3
	v_cndmask_b32_e64 v4, 1.0, 0x4f800000, vcc_lo
	s_delay_alu instid0(VALU_DEP_1) | instskip(NEXT) | instid1(VALU_DEP_1)
	v_mul_f32_e32 v3, v3, v4
	v_log_f32_e32 v3, v3
	s_waitcnt_depctr 0xfff
	v_mul_f32_e32 v4, 0x3f317217, v3
	s_delay_alu instid0(VALU_DEP_1) | instskip(NEXT) | instid1(VALU_DEP_1)
	v_fma_f32 v13, 0x3f317217, v3, -v4
	v_fmac_f32_e32 v13, 0x3377d1cf, v3
	s_delay_alu instid0(VALU_DEP_1) | instskip(SKIP_2) | instid1(VALU_DEP_3)
	v_add_f32_e32 v4, v4, v13
	v_cndmask_b32_e64 v13, 0, 0x41b17218, vcc_lo
	v_cmp_gt_f32_e64 vcc_lo, 0x7f800000, |v3|
	v_cndmask_b32_e32 v3, v3, v4, vcc_lo
	s_delay_alu instid0(VALU_DEP_1) | instskip(NEXT) | instid1(VALU_DEP_1)
	v_sub_f32_e32 v3, v3, v13
	v_div_scale_f32 v4, null, v34, v34, v3
	s_delay_alu instid0(VALU_DEP_1) | instskip(SKIP_2) | instid1(VALU_DEP_1)
	v_rcp_f32_e32 v13, v4
	s_waitcnt_depctr 0xfff
	v_fma_f32 v14, -v4, v13, 1.0
	v_fmac_f32_e32 v13, v14, v13
	v_div_scale_f32 v14, vcc_lo, v3, v34, v3
	s_delay_alu instid0(VALU_DEP_1) | instskip(NEXT) | instid1(VALU_DEP_1)
	v_mul_f32_e32 v40, v14, v13
	v_fma_f32 v41, -v4, v40, v14
	s_delay_alu instid0(VALU_DEP_1) | instskip(NEXT) | instid1(VALU_DEP_1)
	v_fmac_f32_e32 v40, v41, v13
	v_fma_f32 v4, -v4, v40, v14
	s_delay_alu instid0(VALU_DEP_1) | instskip(NEXT) | instid1(VALU_DEP_1)
	v_div_fmas_f32 v4, v4, v13, v40
	v_div_fixup_f32 v3, v4, v34, v3
	s_delay_alu instid0(VALU_DEP_1) | instskip(NEXT) | instid1(VALU_DEP_1)
	v_ceil_f32_e32 v3, v3
	v_cvt_i32_f32_e32 v3, v3
	global_store_b8 v7, v3, s[12:13]
.LBB1_34:                               ;   in Loop: Header=BB1_9 Depth=1
	s_or_b32 exec_lo, exec_lo, s35
	v_add_co_u32 v13, vcc_lo, v10, s24
	v_add_co_ci_u32_e32 v14, vcc_lo, 0, v11, vcc_lo
	s_mov_b32 s35, exec_lo
	s_delay_alu instid0(VALU_DEP_1)
	v_cmpx_gt_i64_e64 s[16:17], v[13:14]
	s_cbranch_execz .LBB1_49
; %bb.35:                               ;   in Loop: Header=BB1_9 Depth=1
	s_and_not1_b32 vcc_lo, exec_lo, s11
	s_cbranch_vccnz .LBB1_41
; %bb.36:                               ;   in Loop: Header=BB1_9 Depth=1
	v_mov_b32_e32 v3, 0
	s_and_not1_b32 vcc_lo, exec_lo, s27
	s_cbranch_vccnz .LBB1_45
; %bb.37:                               ;   in Loop: Header=BB1_9 Depth=1
	s_and_not1_b32 vcc_lo, exec_lo, s30
	s_mov_b32 s20, 0
	s_cbranch_vccnz .LBB1_42
; %bb.38:                               ;   in Loop: Header=BB1_9 Depth=1
	v_dual_mov_b32 v3, 0 :: v_dual_mov_b32 v4, v13
	s_mov_b32 s36, 0
	s_mov_b64 s[20:21], s[18:19]
	s_mov_b64 s[22:23], s[0:1]
.LBB1_39:                               ;   Parent Loop BB1_9 Depth=1
                                        ; =>  This Inner Loop Header: Depth=2
	s_clause 0x1
	s_load_b256 s[40:47], s[20:21], 0x4
	s_load_b128 s[48:51], s[20:21], 0x24
	s_load_b128 s[52:55], s[22:23], 0x0
	s_add_u32 s20, s20, 48
	s_addc_u32 s21, s21, 0
	s_add_i32 s36, s36, 4
	s_add_u32 s22, s22, 16
	s_addc_u32 s23, s23, 0
	s_cmp_eq_u32 s31, s36
	s_waitcnt lgkmcnt(0)
	v_mul_hi_u32 v7, s41, v4
	s_delay_alu instid0(VALU_DEP_1) | instskip(NEXT) | instid1(VALU_DEP_1)
	v_add_nc_u32_e32 v7, v4, v7
	v_lshrrev_b32_e32 v7, s42, v7
	s_delay_alu instid0(VALU_DEP_1) | instskip(SKIP_1) | instid1(VALU_DEP_2)
	v_mul_hi_u32 v14, s44, v7
	v_mul_lo_u32 v42, v7, s40
	v_add_nc_u32_e32 v14, v7, v14
	s_delay_alu instid0(VALU_DEP_2) | instskip(NEXT) | instid1(VALU_DEP_2)
	v_sub_nc_u32_e32 v42, v4, v42
	v_lshrrev_b32_e32 v14, s45, v14
	s_delay_alu instid0(VALU_DEP_2) | instskip(NEXT) | instid1(VALU_DEP_2)
	v_mul_lo_u32 v42, v42, s52
	v_mul_hi_u32 v40, s47, v14
	v_mul_lo_u32 v43, v14, s43
	s_delay_alu instid0(VALU_DEP_2) | instskip(NEXT) | instid1(VALU_DEP_2)
	v_add_nc_u32_e32 v40, v14, v40
	v_sub_nc_u32_e32 v7, v7, v43
	s_delay_alu instid0(VALU_DEP_2) | instskip(NEXT) | instid1(VALU_DEP_2)
	v_lshrrev_b32_e32 v40, s48, v40
	v_mul_lo_u32 v7, v7, s53
	s_delay_alu instid0(VALU_DEP_2) | instskip(NEXT) | instid1(VALU_DEP_2)
	v_mul_hi_u32 v41, s50, v40
	v_add3_u32 v3, v42, v3, v7
	s_delay_alu instid0(VALU_DEP_2) | instskip(NEXT) | instid1(VALU_DEP_1)
	v_add_nc_u32_e32 v41, v40, v41
	v_lshrrev_b32_e32 v4, s51, v41
	v_mul_lo_u32 v41, v40, s46
	s_delay_alu instid0(VALU_DEP_2) | instskip(NEXT) | instid1(VALU_DEP_2)
	v_mul_lo_u32 v44, v4, s49
	v_sub_nc_u32_e32 v14, v14, v41
	s_delay_alu instid0(VALU_DEP_2) | instskip(NEXT) | instid1(VALU_DEP_2)
	v_sub_nc_u32_e32 v40, v40, v44
	v_mul_lo_u32 v14, v14, s54
	s_delay_alu instid0(VALU_DEP_2) | instskip(NEXT) | instid1(VALU_DEP_1)
	v_mul_lo_u32 v40, v40, s55
	v_add3_u32 v3, v14, v3, v40
	s_cbranch_scc0 .LBB1_39
; %bb.40:                               ;   in Loop: Header=BB1_9 Depth=1
	s_mov_b32 s20, s31
	s_and_not1_b32 vcc_lo, exec_lo, s34
	s_cbranch_vccz .LBB1_43
	s_branch .LBB1_45
.LBB1_41:                               ;   in Loop: Header=BB1_9 Depth=1
                                        ; implicit-def: $vgpr3
	s_branch .LBB1_46
.LBB1_42:                               ;   in Loop: Header=BB1_9 Depth=1
	v_mov_b32_e32 v4, v13
	s_and_not1_b32 vcc_lo, exec_lo, s34
	s_cbranch_vccnz .LBB1_45
.LBB1_43:                               ;   in Loop: Header=BB1_9 Depth=1
	s_lshl_b32 s21, s20, 2
	s_mul_i32 s22, s20, 12
	s_add_u32 s20, s0, s21
	s_addc_u32 s21, s1, 0
	s_add_u32 s22, s18, s22
	s_addc_u32 s23, s19, 0
	s_mov_b32 s36, s29
	.p2align	6
.LBB1_44:                               ;   Parent Loop BB1_9 Depth=1
                                        ; =>  This Inner Loop Header: Depth=2
	s_clause 0x1
	s_load_b64 s[38:39], s[22:23], 0x4
	s_load_b32 s37, s[22:23], 0xc
	s_add_u32 s22, s22, 12
	s_addc_u32 s23, s23, 0
	s_waitcnt lgkmcnt(0)
	v_mul_hi_u32 v7, s39, v4
	s_load_b32 s39, s[20:21], 0x0
	s_add_u32 s20, s20, 4
	s_addc_u32 s21, s21, 0
	s_add_i32 s36, s36, -1
	s_delay_alu instid0(SALU_CYCLE_1) | instskip(NEXT) | instid1(VALU_DEP_1)
	s_cmp_lg_u32 s36, 0
	v_add_nc_u32_e32 v7, v4, v7
	s_delay_alu instid0(VALU_DEP_1) | instskip(NEXT) | instid1(VALU_DEP_1)
	v_lshrrev_b32_e32 v7, s37, v7
	v_mul_lo_u32 v14, v7, s38
	s_delay_alu instid0(VALU_DEP_1) | instskip(SKIP_1) | instid1(VALU_DEP_1)
	v_sub_nc_u32_e32 v4, v4, v14
	s_waitcnt lgkmcnt(0)
	v_mad_u64_u32 v[40:41], null, v4, s39, v[3:4]
	s_delay_alu instid0(VALU_DEP_1)
	v_dual_mov_b32 v4, v7 :: v_dual_mov_b32 v3, v40
	s_cbranch_scc1 .LBB1_44
.LBB1_45:                               ;   in Loop: Header=BB1_9 Depth=1
	s_cbranch_execnz .LBB1_48
.LBB1_46:                               ;   in Loop: Header=BB1_9 Depth=1
	v_mul_hi_u32 v3, v13, s6
	s_and_not1_b32 vcc_lo, exec_lo, s4
	s_delay_alu instid0(VALU_DEP_1) | instskip(NEXT) | instid1(VALU_DEP_1)
	v_add_nc_u32_e32 v3, v3, v13
	v_lshrrev_b32_e32 v4, s7, v3
	s_delay_alu instid0(VALU_DEP_1) | instskip(NEXT) | instid1(VALU_DEP_1)
	v_mul_lo_u32 v3, v4, s5
	v_sub_nc_u32_e32 v3, v13, v3
	s_delay_alu instid0(VALU_DEP_1)
	v_mul_lo_u32 v3, v3, s14
	s_cbranch_vccnz .LBB1_48
; %bb.47:                               ;   in Loop: Header=BB1_9 Depth=1
	v_mul_hi_u32 v7, s9, v4
	s_delay_alu instid0(VALU_DEP_1) | instskip(NEXT) | instid1(VALU_DEP_1)
	v_add_nc_u32_e32 v7, v4, v7
	v_lshrrev_b32_e32 v7, s10, v7
	s_delay_alu instid0(VALU_DEP_1) | instskip(NEXT) | instid1(VALU_DEP_1)
	v_mul_lo_u32 v7, v7, s8
	v_sub_nc_u32_e32 v4, v4, v7
	s_delay_alu instid0(VALU_DEP_1) | instskip(NEXT) | instid1(VALU_DEP_1)
	v_mad_u64_u32 v[13:14], null, v4, s15, v[3:4]
	v_mov_b32_e32 v3, v13
.LBB1_48:                               ;   in Loop: Header=BB1_9 Depth=1
	v_lshrrev_b32_e32 v4, 11, v6
	s_delay_alu instid0(VALU_DEP_1) | instskip(SKIP_1) | instid1(VALU_DEP_2)
	v_cvt_f64_u32_e32 v[6:7], v4
	v_cvt_f64_u32_e32 v[4:5], v5
	v_ldexp_f64 v[6:7], v[6:7], 32
	s_delay_alu instid0(VALU_DEP_1) | instskip(NEXT) | instid1(VALU_DEP_1)
	v_add_f64 v[4:5], v[6:7], v[4:5]
	v_fma_f64 v[4:5], 0x3ca00000, v[4:5], 0x3ca00000
	s_delay_alu instid0(VALU_DEP_1) | instskip(NEXT) | instid1(VALU_DEP_1)
	v_cvt_f32_f64_e32 v4, v[4:5]
	v_cmp_gt_f32_e32 vcc_lo, 0x800000, v4
	v_cndmask_b32_e64 v5, 1.0, 0x4f800000, vcc_lo
	s_delay_alu instid0(VALU_DEP_1) | instskip(NEXT) | instid1(VALU_DEP_1)
	v_mul_f32_e32 v4, v4, v5
	v_log_f32_e32 v4, v4
	s_waitcnt_depctr 0xfff
	v_mul_f32_e32 v5, 0x3f317217, v4
	s_delay_alu instid0(VALU_DEP_1) | instskip(NEXT) | instid1(VALU_DEP_1)
	v_fma_f32 v6, 0x3f317217, v4, -v5
	v_fmac_f32_e32 v6, 0x3377d1cf, v4
	s_delay_alu instid0(VALU_DEP_1) | instskip(SKIP_2) | instid1(VALU_DEP_3)
	v_add_f32_e32 v5, v5, v6
	v_cndmask_b32_e64 v6, 0, 0x41b17218, vcc_lo
	v_cmp_gt_f32_e64 vcc_lo, 0x7f800000, |v4|
	v_cndmask_b32_e32 v4, v4, v5, vcc_lo
	s_delay_alu instid0(VALU_DEP_1) | instskip(NEXT) | instid1(VALU_DEP_1)
	v_sub_f32_e32 v4, v4, v6
	v_div_scale_f32 v5, null, v34, v34, v4
	s_delay_alu instid0(VALU_DEP_1) | instskip(SKIP_2) | instid1(VALU_DEP_1)
	v_rcp_f32_e32 v6, v5
	s_waitcnt_depctr 0xfff
	v_fma_f32 v7, -v5, v6, 1.0
	v_fmac_f32_e32 v6, v7, v6
	v_div_scale_f32 v7, vcc_lo, v4, v34, v4
	s_delay_alu instid0(VALU_DEP_1) | instskip(NEXT) | instid1(VALU_DEP_1)
	v_mul_f32_e32 v13, v7, v6
	v_fma_f32 v14, -v5, v13, v7
	s_delay_alu instid0(VALU_DEP_1) | instskip(NEXT) | instid1(VALU_DEP_1)
	v_fmac_f32_e32 v13, v14, v6
	v_fma_f32 v5, -v5, v13, v7
	s_delay_alu instid0(VALU_DEP_1) | instskip(NEXT) | instid1(VALU_DEP_1)
	v_div_fmas_f32 v5, v5, v6, v13
	v_div_fixup_f32 v4, v5, v34, v4
	s_delay_alu instid0(VALU_DEP_1) | instskip(NEXT) | instid1(VALU_DEP_1)
	v_ceil_f32_e32 v4, v4
	v_cvt_i32_f32_e32 v4, v4
	global_store_b8 v3, v4, s[12:13]
.LBB1_49:                               ;   in Loop: Header=BB1_9 Depth=1
	s_or_b32 exec_lo, exec_lo, s35
	v_add_co_u32 v3, vcc_lo, v10, s28
	v_add_co_ci_u32_e32 v4, vcc_lo, 0, v11, vcc_lo
	s_mov_b32 s35, exec_lo
	s_delay_alu instid0(VALU_DEP_1)
	v_cmpx_gt_i64_e64 s[16:17], v[3:4]
	s_cbranch_execz .LBB1_64
; %bb.50:                               ;   in Loop: Header=BB1_9 Depth=1
	s_and_not1_b32 vcc_lo, exec_lo, s11
	s_cbranch_vccnz .LBB1_56
; %bb.51:                               ;   in Loop: Header=BB1_9 Depth=1
	v_mov_b32_e32 v4, 0
	s_and_not1_b32 vcc_lo, exec_lo, s27
	s_cbranch_vccnz .LBB1_60
; %bb.52:                               ;   in Loop: Header=BB1_9 Depth=1
	s_and_not1_b32 vcc_lo, exec_lo, s30
	s_mov_b32 s20, 0
	s_cbranch_vccnz .LBB1_57
; %bb.53:                               ;   in Loop: Header=BB1_9 Depth=1
	v_dual_mov_b32 v4, 0 :: v_dual_mov_b32 v5, v3
	s_mov_b32 s36, 0
	s_mov_b64 s[20:21], s[18:19]
	s_mov_b64 s[22:23], s[0:1]
.LBB1_54:                               ;   Parent Loop BB1_9 Depth=1
                                        ; =>  This Inner Loop Header: Depth=2
	s_clause 0x1
	s_load_b256 s[40:47], s[20:21], 0x4
	s_load_b128 s[48:51], s[20:21], 0x24
	s_load_b128 s[52:55], s[22:23], 0x0
	s_add_u32 s20, s20, 48
	s_addc_u32 s21, s21, 0
	s_add_i32 s36, s36, 4
	s_add_u32 s22, s22, 16
	s_addc_u32 s23, s23, 0
	s_cmp_eq_u32 s31, s36
	s_waitcnt lgkmcnt(0)
	v_mul_hi_u32 v6, s41, v5
	s_delay_alu instid0(VALU_DEP_1) | instskip(NEXT) | instid1(VALU_DEP_1)
	v_add_nc_u32_e32 v6, v5, v6
	v_lshrrev_b32_e32 v6, s42, v6
	s_delay_alu instid0(VALU_DEP_1) | instskip(SKIP_1) | instid1(VALU_DEP_2)
	v_mul_hi_u32 v7, s44, v6
	v_mul_lo_u32 v40, v6, s40
	v_add_nc_u32_e32 v7, v6, v7
	s_delay_alu instid0(VALU_DEP_2) | instskip(NEXT) | instid1(VALU_DEP_2)
	v_sub_nc_u32_e32 v40, v5, v40
	v_lshrrev_b32_e32 v7, s45, v7
	s_delay_alu instid0(VALU_DEP_2) | instskip(NEXT) | instid1(VALU_DEP_2)
	v_mul_lo_u32 v40, v40, s52
	v_mul_hi_u32 v13, s47, v7
	v_mul_lo_u32 v41, v7, s43
	s_delay_alu instid0(VALU_DEP_2) | instskip(NEXT) | instid1(VALU_DEP_2)
	v_add_nc_u32_e32 v13, v7, v13
	v_sub_nc_u32_e32 v6, v6, v41
	s_delay_alu instid0(VALU_DEP_2) | instskip(NEXT) | instid1(VALU_DEP_2)
	v_lshrrev_b32_e32 v13, s48, v13
	v_mul_lo_u32 v6, v6, s53
	s_delay_alu instid0(VALU_DEP_2) | instskip(NEXT) | instid1(VALU_DEP_2)
	v_mul_hi_u32 v14, s50, v13
	v_add3_u32 v4, v40, v4, v6
	s_delay_alu instid0(VALU_DEP_2) | instskip(NEXT) | instid1(VALU_DEP_1)
	v_add_nc_u32_e32 v14, v13, v14
	v_lshrrev_b32_e32 v5, s51, v14
	v_mul_lo_u32 v14, v13, s46
	s_delay_alu instid0(VALU_DEP_2) | instskip(NEXT) | instid1(VALU_DEP_2)
	v_mul_lo_u32 v42, v5, s49
	v_sub_nc_u32_e32 v7, v7, v14
	s_delay_alu instid0(VALU_DEP_2) | instskip(NEXT) | instid1(VALU_DEP_2)
	v_sub_nc_u32_e32 v13, v13, v42
	v_mul_lo_u32 v7, v7, s54
	s_delay_alu instid0(VALU_DEP_2) | instskip(NEXT) | instid1(VALU_DEP_1)
	v_mul_lo_u32 v13, v13, s55
	v_add3_u32 v4, v7, v4, v13
	s_cbranch_scc0 .LBB1_54
; %bb.55:                               ;   in Loop: Header=BB1_9 Depth=1
	s_mov_b32 s20, s31
	s_and_not1_b32 vcc_lo, exec_lo, s34
	s_cbranch_vccz .LBB1_58
	s_branch .LBB1_60
.LBB1_56:                               ;   in Loop: Header=BB1_9 Depth=1
                                        ; implicit-def: $vgpr4
	s_branch .LBB1_61
.LBB1_57:                               ;   in Loop: Header=BB1_9 Depth=1
	v_mov_b32_e32 v5, v3
	s_and_not1_b32 vcc_lo, exec_lo, s34
	s_cbranch_vccnz .LBB1_60
.LBB1_58:                               ;   in Loop: Header=BB1_9 Depth=1
	s_lshl_b32 s21, s20, 2
	s_mul_i32 s22, s20, 12
	s_add_u32 s20, s0, s21
	s_addc_u32 s21, s1, 0
	s_add_u32 s22, s18, s22
	s_addc_u32 s23, s19, 0
	s_mov_b32 s36, s29
	.p2align	6
.LBB1_59:                               ;   Parent Loop BB1_9 Depth=1
                                        ; =>  This Inner Loop Header: Depth=2
	s_clause 0x1
	s_load_b64 s[38:39], s[22:23], 0x4
	s_load_b32 s37, s[22:23], 0xc
	s_add_u32 s22, s22, 12
	s_addc_u32 s23, s23, 0
	s_waitcnt lgkmcnt(0)
	v_mul_hi_u32 v6, s39, v5
	s_load_b32 s39, s[20:21], 0x0
	s_add_u32 s20, s20, 4
	s_addc_u32 s21, s21, 0
	s_add_i32 s36, s36, -1
	s_delay_alu instid0(SALU_CYCLE_1) | instskip(NEXT) | instid1(VALU_DEP_1)
	s_cmp_lg_u32 s36, 0
	v_add_nc_u32_e32 v6, v5, v6
	s_delay_alu instid0(VALU_DEP_1) | instskip(NEXT) | instid1(VALU_DEP_1)
	v_lshrrev_b32_e32 v13, s37, v6
	v_mul_lo_u32 v6, v13, s38
	s_delay_alu instid0(VALU_DEP_1) | instskip(SKIP_1) | instid1(VALU_DEP_1)
	v_sub_nc_u32_e32 v5, v5, v6
	s_waitcnt lgkmcnt(0)
	v_mad_u64_u32 v[6:7], null, v5, s39, v[4:5]
	s_delay_alu instid0(VALU_DEP_1)
	v_dual_mov_b32 v5, v13 :: v_dual_mov_b32 v4, v6
	s_cbranch_scc1 .LBB1_59
.LBB1_60:                               ;   in Loop: Header=BB1_9 Depth=1
	s_cbranch_execnz .LBB1_63
.LBB1_61:                               ;   in Loop: Header=BB1_9 Depth=1
	v_mul_hi_u32 v4, v3, s6
	s_and_not1_b32 vcc_lo, exec_lo, s4
	s_delay_alu instid0(VALU_DEP_1) | instskip(NEXT) | instid1(VALU_DEP_1)
	v_add_nc_u32_e32 v4, v4, v3
	v_lshrrev_b32_e32 v5, s7, v4
	s_delay_alu instid0(VALU_DEP_1) | instskip(NEXT) | instid1(VALU_DEP_1)
	v_mul_lo_u32 v4, v5, s5
	v_sub_nc_u32_e32 v3, v3, v4
	s_delay_alu instid0(VALU_DEP_1)
	v_mul_lo_u32 v4, v3, s14
	s_cbranch_vccnz .LBB1_63
; %bb.62:                               ;   in Loop: Header=BB1_9 Depth=1
	v_mul_hi_u32 v3, s9, v5
	s_delay_alu instid0(VALU_DEP_1) | instskip(NEXT) | instid1(VALU_DEP_1)
	v_add_nc_u32_e32 v3, v5, v3
	v_lshrrev_b32_e32 v3, s10, v3
	s_delay_alu instid0(VALU_DEP_1) | instskip(NEXT) | instid1(VALU_DEP_1)
	v_mul_lo_u32 v3, v3, s8
	v_sub_nc_u32_e32 v3, v5, v3
	s_delay_alu instid0(VALU_DEP_1) | instskip(NEXT) | instid1(VALU_DEP_1)
	v_mad_u64_u32 v[5:6], null, v3, s15, v[4:5]
	v_mov_b32_e32 v4, v5
.LBB1_63:                               ;   in Loop: Header=BB1_9 Depth=1
	global_store_b8 v4, v38, s[12:13]
.LBB1_64:                               ;   in Loop: Header=BB1_9 Depth=1
	s_or_b32 exec_lo, exec_lo, s35
	v_add_co_u32 v3, vcc_lo, v10, s33
	v_add_co_ci_u32_e32 v4, vcc_lo, 0, v11, vcc_lo
	s_mov_b32 s35, exec_lo
	s_delay_alu instid0(VALU_DEP_1)
	v_cmpx_gt_i64_e64 s[16:17], v[3:4]
	s_cbranch_execz .LBB1_8
; %bb.65:                               ;   in Loop: Header=BB1_9 Depth=1
	s_and_not1_b32 vcc_lo, exec_lo, s11
	s_cbranch_vccnz .LBB1_71
; %bb.66:                               ;   in Loop: Header=BB1_9 Depth=1
	v_mov_b32_e32 v4, 0
	s_and_not1_b32 vcc_lo, exec_lo, s27
	s_cbranch_vccnz .LBB1_75
; %bb.67:                               ;   in Loop: Header=BB1_9 Depth=1
	s_and_not1_b32 vcc_lo, exec_lo, s30
	s_mov_b32 s20, 0
	s_cbranch_vccnz .LBB1_72
; %bb.68:                               ;   in Loop: Header=BB1_9 Depth=1
	v_dual_mov_b32 v4, 0 :: v_dual_mov_b32 v5, v3
	s_mov_b32 s36, 0
	s_mov_b64 s[20:21], s[18:19]
	s_mov_b64 s[22:23], s[0:1]
.LBB1_69:                               ;   Parent Loop BB1_9 Depth=1
                                        ; =>  This Inner Loop Header: Depth=2
	s_clause 0x1
	s_load_b256 s[40:47], s[20:21], 0x4
	s_load_b128 s[48:51], s[20:21], 0x24
	s_load_b128 s[52:55], s[22:23], 0x0
	s_add_u32 s20, s20, 48
	s_addc_u32 s21, s21, 0
	s_add_i32 s36, s36, 4
	s_add_u32 s22, s22, 16
	s_addc_u32 s23, s23, 0
	s_cmp_eq_u32 s31, s36
	s_waitcnt lgkmcnt(0)
	v_mul_hi_u32 v6, s41, v5
	s_delay_alu instid0(VALU_DEP_1) | instskip(NEXT) | instid1(VALU_DEP_1)
	v_add_nc_u32_e32 v6, v5, v6
	v_lshrrev_b32_e32 v6, s42, v6
	s_delay_alu instid0(VALU_DEP_1) | instskip(SKIP_1) | instid1(VALU_DEP_2)
	v_mul_hi_u32 v7, s44, v6
	v_mul_lo_u32 v40, v6, s40
	v_add_nc_u32_e32 v7, v6, v7
	s_delay_alu instid0(VALU_DEP_2) | instskip(NEXT) | instid1(VALU_DEP_2)
	v_sub_nc_u32_e32 v40, v5, v40
	v_lshrrev_b32_e32 v7, s45, v7
	s_delay_alu instid0(VALU_DEP_2) | instskip(NEXT) | instid1(VALU_DEP_2)
	v_mul_lo_u32 v40, v40, s52
	v_mul_hi_u32 v13, s47, v7
	v_mul_lo_u32 v41, v7, s43
	s_delay_alu instid0(VALU_DEP_2) | instskip(NEXT) | instid1(VALU_DEP_2)
	v_add_nc_u32_e32 v13, v7, v13
	v_sub_nc_u32_e32 v6, v6, v41
	s_delay_alu instid0(VALU_DEP_2) | instskip(NEXT) | instid1(VALU_DEP_2)
	v_lshrrev_b32_e32 v13, s48, v13
	v_mul_lo_u32 v6, v6, s53
	s_delay_alu instid0(VALU_DEP_2) | instskip(NEXT) | instid1(VALU_DEP_2)
	v_mul_hi_u32 v14, s50, v13
	v_add3_u32 v4, v40, v4, v6
	s_delay_alu instid0(VALU_DEP_2) | instskip(NEXT) | instid1(VALU_DEP_1)
	v_add_nc_u32_e32 v14, v13, v14
	v_lshrrev_b32_e32 v5, s51, v14
	v_mul_lo_u32 v14, v13, s46
	s_delay_alu instid0(VALU_DEP_2) | instskip(NEXT) | instid1(VALU_DEP_2)
	v_mul_lo_u32 v42, v5, s49
	v_sub_nc_u32_e32 v7, v7, v14
	s_delay_alu instid0(VALU_DEP_2) | instskip(NEXT) | instid1(VALU_DEP_2)
	v_sub_nc_u32_e32 v13, v13, v42
	v_mul_lo_u32 v7, v7, s54
	s_delay_alu instid0(VALU_DEP_2) | instskip(NEXT) | instid1(VALU_DEP_1)
	v_mul_lo_u32 v13, v13, s55
	v_add3_u32 v4, v7, v4, v13
	s_cbranch_scc0 .LBB1_69
; %bb.70:                               ;   in Loop: Header=BB1_9 Depth=1
	s_mov_b32 s20, s31
	s_and_not1_b32 vcc_lo, exec_lo, s34
	s_cbranch_vccz .LBB1_73
	s_branch .LBB1_75
.LBB1_71:                               ;   in Loop: Header=BB1_9 Depth=1
                                        ; implicit-def: $vgpr4
	s_branch .LBB1_76
.LBB1_72:                               ;   in Loop: Header=BB1_9 Depth=1
	v_mov_b32_e32 v5, v3
	s_and_not1_b32 vcc_lo, exec_lo, s34
	s_cbranch_vccnz .LBB1_75
.LBB1_73:                               ;   in Loop: Header=BB1_9 Depth=1
	s_lshl_b32 s21, s20, 2
	s_mul_i32 s22, s20, 12
	s_add_u32 s20, s0, s21
	s_addc_u32 s21, s1, 0
	s_add_u32 s22, s18, s22
	s_addc_u32 s23, s19, 0
	s_mov_b32 s36, s29
	.p2align	6
.LBB1_74:                               ;   Parent Loop BB1_9 Depth=1
                                        ; =>  This Inner Loop Header: Depth=2
	s_clause 0x1
	s_load_b64 s[38:39], s[22:23], 0x4
	s_load_b32 s37, s[22:23], 0xc
	s_add_u32 s22, s22, 12
	s_addc_u32 s23, s23, 0
	s_waitcnt lgkmcnt(0)
	v_mul_hi_u32 v6, s39, v5
	s_load_b32 s39, s[20:21], 0x0
	s_add_u32 s20, s20, 4
	s_addc_u32 s21, s21, 0
	s_add_i32 s36, s36, -1
	s_delay_alu instid0(SALU_CYCLE_1) | instskip(NEXT) | instid1(VALU_DEP_1)
	s_cmp_lg_u32 s36, 0
	v_add_nc_u32_e32 v6, v5, v6
	s_delay_alu instid0(VALU_DEP_1) | instskip(NEXT) | instid1(VALU_DEP_1)
	v_lshrrev_b32_e32 v13, s37, v6
	v_mul_lo_u32 v6, v13, s38
	s_delay_alu instid0(VALU_DEP_1) | instskip(SKIP_1) | instid1(VALU_DEP_1)
	v_sub_nc_u32_e32 v5, v5, v6
	s_waitcnt lgkmcnt(0)
	v_mad_u64_u32 v[6:7], null, v5, s39, v[4:5]
	s_delay_alu instid0(VALU_DEP_1)
	v_dual_mov_b32 v5, v13 :: v_dual_mov_b32 v4, v6
	s_cbranch_scc1 .LBB1_74
.LBB1_75:                               ;   in Loop: Header=BB1_9 Depth=1
	s_cbranch_execnz .LBB1_7
.LBB1_76:                               ;   in Loop: Header=BB1_9 Depth=1
	v_mul_hi_u32 v4, v3, s6
	s_and_not1_b32 vcc_lo, exec_lo, s4
	s_delay_alu instid0(VALU_DEP_1) | instskip(NEXT) | instid1(VALU_DEP_1)
	v_add_nc_u32_e32 v4, v4, v3
	v_lshrrev_b32_e32 v5, s7, v4
	s_delay_alu instid0(VALU_DEP_1) | instskip(NEXT) | instid1(VALU_DEP_1)
	v_mul_lo_u32 v4, v5, s5
	v_sub_nc_u32_e32 v3, v3, v4
	s_delay_alu instid0(VALU_DEP_1)
	v_mul_lo_u32 v4, v3, s14
	s_cbranch_vccnz .LBB1_7
; %bb.77:                               ;   in Loop: Header=BB1_9 Depth=1
	v_mul_hi_u32 v3, s9, v5
	s_delay_alu instid0(VALU_DEP_1) | instskip(NEXT) | instid1(VALU_DEP_1)
	v_add_nc_u32_e32 v3, v5, v3
	v_lshrrev_b32_e32 v3, s10, v3
	s_delay_alu instid0(VALU_DEP_1) | instskip(NEXT) | instid1(VALU_DEP_1)
	v_mul_lo_u32 v3, v3, s8
	v_sub_nc_u32_e32 v3, v5, v3
	s_delay_alu instid0(VALU_DEP_1) | instskip(NEXT) | instid1(VALU_DEP_1)
	v_mad_u64_u32 v[5:6], null, v3, s15, v[4:5]
	v_mov_b32_e32 v4, v5
	s_branch .LBB1_7
.LBB1_78:
	s_endpgm
.LBB1_79:
                                        ; implicit-def: $sgpr2_sgpr3
	s_branch .LBB1_4
	.section	.rodata,"a",@progbits
	.p2align	6, 0x0
	.amdhsa_kernel _ZN2at6native12_GLOBAL__N_143distribution_elementwise_grid_stride_kernelIfLi4EZNS0_9templates4cuda21uniform_and_transformIhfPNS_17CUDAGeneratorImplEZZZNS4_16geometric_kernelIS7_EEvRNS_18TensorIteratorBaseEdT_ENKUlvE_clEvENKUlvE_clEvEUlfE_EEvSA_T1_T2_EUlP25hiprandStatePhilox4_32_10E_ZNS1_27distribution_nullary_kernelIhf15HIP_vector_typeIdLj2EES7_SJ_SE_EEvSA_SG_RKT3_T4_EUlifE0_EEvlNS_15PhiloxCudaStateESF_SG_
		.amdhsa_group_segment_fixed_size 0
		.amdhsa_private_segment_fixed_size 0
		.amdhsa_kernarg_size 584
		.amdhsa_user_sgpr_count 15
		.amdhsa_user_sgpr_dispatch_ptr 0
		.amdhsa_user_sgpr_queue_ptr 0
		.amdhsa_user_sgpr_kernarg_segment_ptr 1
		.amdhsa_user_sgpr_dispatch_id 0
		.amdhsa_user_sgpr_private_segment_size 0
		.amdhsa_wavefront_size32 1
		.amdhsa_uses_dynamic_stack 0
		.amdhsa_enable_private_segment 0
		.amdhsa_system_sgpr_workgroup_id_x 1
		.amdhsa_system_sgpr_workgroup_id_y 0
		.amdhsa_system_sgpr_workgroup_id_z 0
		.amdhsa_system_sgpr_workgroup_info 0
		.amdhsa_system_vgpr_workitem_id 0
		.amdhsa_next_free_vgpr 46
		.amdhsa_next_free_sgpr 56
		.amdhsa_reserve_vcc 1
		.amdhsa_float_round_mode_32 0
		.amdhsa_float_round_mode_16_64 0
		.amdhsa_float_denorm_mode_32 3
		.amdhsa_float_denorm_mode_16_64 3
		.amdhsa_dx10_clamp 1
		.amdhsa_ieee_mode 1
		.amdhsa_fp16_overflow 0
		.amdhsa_workgroup_processor_mode 1
		.amdhsa_memory_ordered 1
		.amdhsa_forward_progress 0
		.amdhsa_shared_vgpr_count 0
		.amdhsa_exception_fp_ieee_invalid_op 0
		.amdhsa_exception_fp_denorm_src 0
		.amdhsa_exception_fp_ieee_div_zero 0
		.amdhsa_exception_fp_ieee_overflow 0
		.amdhsa_exception_fp_ieee_underflow 0
		.amdhsa_exception_fp_ieee_inexact 0
		.amdhsa_exception_int_div_zero 0
	.end_amdhsa_kernel
	.section	.text._ZN2at6native12_GLOBAL__N_143distribution_elementwise_grid_stride_kernelIfLi4EZNS0_9templates4cuda21uniform_and_transformIhfPNS_17CUDAGeneratorImplEZZZNS4_16geometric_kernelIS7_EEvRNS_18TensorIteratorBaseEdT_ENKUlvE_clEvENKUlvE_clEvEUlfE_EEvSA_T1_T2_EUlP25hiprandStatePhilox4_32_10E_ZNS1_27distribution_nullary_kernelIhf15HIP_vector_typeIdLj2EES7_SJ_SE_EEvSA_SG_RKT3_T4_EUlifE0_EEvlNS_15PhiloxCudaStateESF_SG_,"axG",@progbits,_ZN2at6native12_GLOBAL__N_143distribution_elementwise_grid_stride_kernelIfLi4EZNS0_9templates4cuda21uniform_and_transformIhfPNS_17CUDAGeneratorImplEZZZNS4_16geometric_kernelIS7_EEvRNS_18TensorIteratorBaseEdT_ENKUlvE_clEvENKUlvE_clEvEUlfE_EEvSA_T1_T2_EUlP25hiprandStatePhilox4_32_10E_ZNS1_27distribution_nullary_kernelIhf15HIP_vector_typeIdLj2EES7_SJ_SE_EEvSA_SG_RKT3_T4_EUlifE0_EEvlNS_15PhiloxCudaStateESF_SG_,comdat
.Lfunc_end1:
	.size	_ZN2at6native12_GLOBAL__N_143distribution_elementwise_grid_stride_kernelIfLi4EZNS0_9templates4cuda21uniform_and_transformIhfPNS_17CUDAGeneratorImplEZZZNS4_16geometric_kernelIS7_EEvRNS_18TensorIteratorBaseEdT_ENKUlvE_clEvENKUlvE_clEvEUlfE_EEvSA_T1_T2_EUlP25hiprandStatePhilox4_32_10E_ZNS1_27distribution_nullary_kernelIhf15HIP_vector_typeIdLj2EES7_SJ_SE_EEvSA_SG_RKT3_T4_EUlifE0_EEvlNS_15PhiloxCudaStateESF_SG_, .Lfunc_end1-_ZN2at6native12_GLOBAL__N_143distribution_elementwise_grid_stride_kernelIfLi4EZNS0_9templates4cuda21uniform_and_transformIhfPNS_17CUDAGeneratorImplEZZZNS4_16geometric_kernelIS7_EEvRNS_18TensorIteratorBaseEdT_ENKUlvE_clEvENKUlvE_clEvEUlfE_EEvSA_T1_T2_EUlP25hiprandStatePhilox4_32_10E_ZNS1_27distribution_nullary_kernelIhf15HIP_vector_typeIdLj2EES7_SJ_SE_EEvSA_SG_RKT3_T4_EUlifE0_EEvlNS_15PhiloxCudaStateESF_SG_
                                        ; -- End function
	.section	.AMDGPU.csdata,"",@progbits
; Kernel info:
; codeLenInByte = 6516
; NumSgprs: 58
; NumVgprs: 46
; ScratchSize: 0
; MemoryBound: 0
; FloatMode: 240
; IeeeMode: 1
; LDSByteSize: 0 bytes/workgroup (compile time only)
; SGPRBlocks: 7
; VGPRBlocks: 5
; NumSGPRsForWavesPerEU: 58
; NumVGPRsForWavesPerEU: 46
; Occupancy: 16
; WaveLimiterHint : 1
; COMPUTE_PGM_RSRC2:SCRATCH_EN: 0
; COMPUTE_PGM_RSRC2:USER_SGPR: 15
; COMPUTE_PGM_RSRC2:TRAP_HANDLER: 0
; COMPUTE_PGM_RSRC2:TGID_X_EN: 1
; COMPUTE_PGM_RSRC2:TGID_Y_EN: 0
; COMPUTE_PGM_RSRC2:TGID_Z_EN: 0
; COMPUTE_PGM_RSRC2:TIDIG_COMP_CNT: 0
	.section	.text._ZN2at6native12_GLOBAL__N_143distribution_elementwise_grid_stride_kernelIfLi4EZNS0_9templates4cuda21uniform_and_transformIhfPNS_17CUDAGeneratorImplEZZZNS4_16geometric_kernelIS7_EEvRNS_18TensorIteratorBaseEdT_ENKUlvE_clEvENKUlvE_clEvEUlfE_EEvSA_T1_T2_EUlP25hiprandStatePhilox4_32_10E0_ZNS1_27distribution_nullary_kernelIhf15HIP_vector_typeIfLj4EES7_SJ_SE_EEvSA_SG_RKT3_T4_EUlifE_EEvlNS_15PhiloxCudaStateESF_SG_,"axG",@progbits,_ZN2at6native12_GLOBAL__N_143distribution_elementwise_grid_stride_kernelIfLi4EZNS0_9templates4cuda21uniform_and_transformIhfPNS_17CUDAGeneratorImplEZZZNS4_16geometric_kernelIS7_EEvRNS_18TensorIteratorBaseEdT_ENKUlvE_clEvENKUlvE_clEvEUlfE_EEvSA_T1_T2_EUlP25hiprandStatePhilox4_32_10E0_ZNS1_27distribution_nullary_kernelIhf15HIP_vector_typeIfLj4EES7_SJ_SE_EEvSA_SG_RKT3_T4_EUlifE_EEvlNS_15PhiloxCudaStateESF_SG_,comdat
	.globl	_ZN2at6native12_GLOBAL__N_143distribution_elementwise_grid_stride_kernelIfLi4EZNS0_9templates4cuda21uniform_and_transformIhfPNS_17CUDAGeneratorImplEZZZNS4_16geometric_kernelIS7_EEvRNS_18TensorIteratorBaseEdT_ENKUlvE_clEvENKUlvE_clEvEUlfE_EEvSA_T1_T2_EUlP25hiprandStatePhilox4_32_10E0_ZNS1_27distribution_nullary_kernelIhf15HIP_vector_typeIfLj4EES7_SJ_SE_EEvSA_SG_RKT3_T4_EUlifE_EEvlNS_15PhiloxCudaStateESF_SG_ ; -- Begin function _ZN2at6native12_GLOBAL__N_143distribution_elementwise_grid_stride_kernelIfLi4EZNS0_9templates4cuda21uniform_and_transformIhfPNS_17CUDAGeneratorImplEZZZNS4_16geometric_kernelIS7_EEvRNS_18TensorIteratorBaseEdT_ENKUlvE_clEvENKUlvE_clEvEUlfE_EEvSA_T1_T2_EUlP25hiprandStatePhilox4_32_10E0_ZNS1_27distribution_nullary_kernelIhf15HIP_vector_typeIfLj4EES7_SJ_SE_EEvSA_SG_RKT3_T4_EUlifE_EEvlNS_15PhiloxCudaStateESF_SG_
	.p2align	8
	.type	_ZN2at6native12_GLOBAL__N_143distribution_elementwise_grid_stride_kernelIfLi4EZNS0_9templates4cuda21uniform_and_transformIhfPNS_17CUDAGeneratorImplEZZZNS4_16geometric_kernelIS7_EEvRNS_18TensorIteratorBaseEdT_ENKUlvE_clEvENKUlvE_clEvEUlfE_EEvSA_T1_T2_EUlP25hiprandStatePhilox4_32_10E0_ZNS1_27distribution_nullary_kernelIhf15HIP_vector_typeIfLj4EES7_SJ_SE_EEvSA_SG_RKT3_T4_EUlifE_EEvlNS_15PhiloxCudaStateESF_SG_,@function
_ZN2at6native12_GLOBAL__N_143distribution_elementwise_grid_stride_kernelIfLi4EZNS0_9templates4cuda21uniform_and_transformIhfPNS_17CUDAGeneratorImplEZZZNS4_16geometric_kernelIS7_EEvRNS_18TensorIteratorBaseEdT_ENKUlvE_clEvENKUlvE_clEvEUlfE_EEvSA_T1_T2_EUlP25hiprandStatePhilox4_32_10E0_ZNS1_27distribution_nullary_kernelIhf15HIP_vector_typeIfLj4EES7_SJ_SE_EEvSA_SG_RKT3_T4_EUlifE_EEvlNS_15PhiloxCudaStateESF_SG_: ; @_ZN2at6native12_GLOBAL__N_143distribution_elementwise_grid_stride_kernelIfLi4EZNS0_9templates4cuda21uniform_and_transformIhfPNS_17CUDAGeneratorImplEZZZNS4_16geometric_kernelIS7_EEvRNS_18TensorIteratorBaseEdT_ENKUlvE_clEvENKUlvE_clEvEUlfE_EEvSA_T1_T2_EUlP25hiprandStatePhilox4_32_10E0_ZNS1_27distribution_nullary_kernelIhf15HIP_vector_typeIfLj4EES7_SJ_SE_EEvSA_SG_RKT3_T4_EUlifE_EEvlNS_15PhiloxCudaStateESF_SG_
; %bb.0:
	s_clause 0x2
	s_load_b64 s[8:9], s[0:1], 0x10
	s_load_b128 s[4:7], s[0:1], 0x0
	s_load_b32 s2, s[0:1], 0x20
	s_waitcnt lgkmcnt(0)
	v_dual_mov_b32 v2, s8 :: v_dual_mov_b32 v3, s9
	v_dual_mov_b32 v12, s7 :: v_dual_mov_b32 v11, s6
	s_bitcmp0_b32 s2, 0
	s_mov_b32 s2, 0
	s_cbranch_scc1 .LBB2_2
; %bb.1:
	v_dual_mov_b32 v1, s8 :: v_dual_mov_b32 v2, s9
	v_dual_mov_b32 v4, s6 :: v_dual_mov_b32 v5, s7
	s_load_b64 s[6:7], s[0:1], 0x18
	flat_load_b64 v[2:3], v[1:2]
	flat_load_b64 v[11:12], v[4:5]
	s_waitcnt vmcnt(1) lgkmcnt(0)
	v_add_co_u32 v2, vcc_lo, v2, s6
	v_add_co_ci_u32_e32 v3, vcc_lo, s7, v3, vcc_lo
.LBB2_2:
	s_clause 0x1
	s_load_b32 s3, s[0:1], 0x54
	s_load_b32 s11, s[0:1], 0x48
	s_waitcnt lgkmcnt(0)
	s_and_b32 s10, s3, 0xffff
	s_add_u32 s6, s4, -1
	s_mul_i32 s8, s11, s10
	s_addc_u32 s3, s5, -1
	s_lshl_b32 s9, s8, 2
	s_cmp_lg_u64 s[2:3], 0
	s_cbranch_scc0 .LBB2_27
; %bb.3:
	v_cvt_f32_ubyte0_e32 v1, 0
	v_cvt_f32_u32_e32 v4, s9
	s_sub_u32 s12, 0, s9
	s_subb_u32 s13, 0, 0
	s_delay_alu instid0(VALU_DEP_1) | instskip(NEXT) | instid1(VALU_DEP_1)
	v_fmamk_f32 v1, v1, 0x4f800000, v4
	v_rcp_f32_e32 v1, v1
	s_waitcnt_depctr 0xfff
	v_mul_f32_e32 v1, 0x5f7ffffc, v1
	s_delay_alu instid0(VALU_DEP_1) | instskip(NEXT) | instid1(VALU_DEP_1)
	v_mul_f32_e32 v4, 0x2f800000, v1
	v_trunc_f32_e32 v4, v4
	s_delay_alu instid0(VALU_DEP_1) | instskip(SKIP_1) | instid1(VALU_DEP_2)
	v_fmamk_f32 v1, v4, 0xcf800000, v1
	v_cvt_u32_f32_e32 v4, v4
	v_cvt_u32_f32_e32 v1, v1
	s_delay_alu instid0(VALU_DEP_2) | instskip(NEXT) | instid1(VALU_DEP_2)
	v_readfirstlane_b32 s2, v4
	v_readfirstlane_b32 s7, v1
	s_delay_alu instid0(VALU_DEP_2) | instskip(NEXT) | instid1(VALU_DEP_1)
	s_mul_i32 s14, s12, s2
	s_mul_hi_u32 s17, s12, s7
	s_mul_i32 s16, s13, s7
	s_add_i32 s14, s17, s14
	s_mul_i32 s18, s12, s7
	s_add_i32 s14, s14, s16
	s_mul_hi_u32 s17, s7, s18
	s_mul_hi_u32 s19, s2, s18
	s_mul_i32 s16, s2, s18
	s_mul_hi_u32 s18, s7, s14
	s_mul_i32 s7, s7, s14
	s_mul_hi_u32 s20, s2, s14
	s_add_u32 s7, s17, s7
	s_addc_u32 s17, 0, s18
	s_add_u32 s7, s7, s16
	s_mul_i32 s14, s2, s14
	s_addc_u32 s7, s17, s19
	s_addc_u32 s16, s20, 0
	s_add_u32 s7, s7, s14
	s_addc_u32 s14, 0, s16
	v_add_co_u32 v1, s7, v1, s7
	s_delay_alu instid0(VALU_DEP_1) | instskip(SKIP_1) | instid1(VALU_DEP_1)
	s_cmp_lg_u32 s7, 0
	s_addc_u32 s2, s2, s14
	v_readfirstlane_b32 s7, v1
	s_mul_i32 s14, s12, s2
	s_delay_alu instid0(VALU_DEP_1)
	s_mul_hi_u32 s16, s12, s7
	s_mul_i32 s13, s13, s7
	s_add_i32 s14, s16, s14
	s_mul_i32 s12, s12, s7
	s_add_i32 s14, s14, s13
	s_mul_hi_u32 s16, s2, s12
	s_mul_i32 s17, s2, s12
	s_mul_hi_u32 s12, s7, s12
	s_mul_hi_u32 s18, s7, s14
	s_mul_i32 s7, s7, s14
	s_mul_hi_u32 s13, s2, s14
	s_add_u32 s7, s12, s7
	s_addc_u32 s12, 0, s18
	s_add_u32 s7, s7, s17
	s_mul_i32 s14, s2, s14
	s_addc_u32 s7, s12, s16
	s_addc_u32 s12, s13, 0
	s_add_u32 s7, s7, s14
	s_addc_u32 s12, 0, s12
	v_add_co_u32 v1, s7, v1, s7
	s_delay_alu instid0(VALU_DEP_1) | instskip(SKIP_2) | instid1(VALU_DEP_1)
	s_cmp_lg_u32 s7, 0
	s_addc_u32 s7, s2, s12
	s_ashr_i32 s12, s3, 31
	v_readfirstlane_b32 s14, v1
	s_add_u32 s2, s6, s12
	s_mov_b32 s13, s12
	s_addc_u32 s3, s3, s12
	s_delay_alu instid0(SALU_CYCLE_1) | instskip(NEXT) | instid1(SALU_CYCLE_1)
	s_xor_b64 s[2:3], s[2:3], s[12:13]
	s_mul_i32 s17, s2, s7
	s_mul_hi_u32 s18, s2, s14
	s_mul_hi_u32 s16, s2, s7
	;; [unrolled: 1-line block ×3, first 2 shown]
	s_mul_i32 s14, s3, s14
	s_add_u32 s17, s18, s17
	s_addc_u32 s16, 0, s16
	s_mul_hi_u32 s19, s3, s7
	s_add_u32 s14, s17, s14
	s_mul_i32 s7, s3, s7
	s_addc_u32 s14, s16, s20
	s_addc_u32 s16, s19, 0
	s_add_u32 s7, s14, s7
	s_addc_u32 s14, 0, s16
	s_mul_i32 s17, s9, s7
	s_add_u32 s16, s7, 1
	v_sub_co_u32 v1, s2, s2, s17
	s_mul_hi_u32 s17, s9, s7
	s_addc_u32 s18, s14, 0
	s_mul_i32 s19, s9, s14
	s_delay_alu instid0(VALU_DEP_1)
	v_sub_co_u32 v4, s20, v1, s9
	s_add_u32 s21, s7, 2
	s_addc_u32 s22, s14, 0
	s_add_i32 s17, s17, s19
	s_cmp_lg_u32 s2, 0
	v_readfirstlane_b32 s2, v4
	s_subb_u32 s3, s3, s17
	s_cmp_lg_u32 s20, 0
	s_subb_u32 s17, s3, 0
	s_delay_alu instid0(VALU_DEP_1) | instskip(SKIP_4) | instid1(SALU_CYCLE_1)
	s_cmp_ge_u32 s2, s9
	s_cselect_b32 s2, -1, 0
	s_cmp_eq_u32 s17, 0
	v_readfirstlane_b32 s17, v1
	s_cselect_b32 s2, s2, -1
	s_cmp_lg_u32 s2, 0
	s_cselect_b32 s2, s21, s16
	s_cselect_b32 s16, s22, s18
	s_cmp_ge_u32 s17, s9
	s_cselect_b32 s17, -1, 0
	s_cmp_eq_u32 s3, 0
	s_cselect_b32 s3, s17, -1
	s_delay_alu instid0(SALU_CYCLE_1) | instskip(SKIP_2) | instid1(SALU_CYCLE_1)
	s_cmp_lg_u32 s3, 0
	s_cselect_b32 s3, s16, s14
	s_cselect_b32 s2, s2, s7
	s_xor_b64 s[2:3], s[2:3], s[12:13]
	s_delay_alu instid0(SALU_CYCLE_1)
	s_sub_u32 s2, s2, s12
	s_subb_u32 s3, s3, s12
	s_cbranch_execnz .LBB2_5
.LBB2_4:
	v_cvt_f32_u32_e32 v1, s9
	s_sub_i32 s3, 0, s9
	s_delay_alu instid0(VALU_DEP_1) | instskip(SKIP_2) | instid1(VALU_DEP_1)
	v_rcp_iflag_f32_e32 v1, v1
	s_waitcnt_depctr 0xfff
	v_mul_f32_e32 v1, 0x4f7ffffe, v1
	v_cvt_u32_f32_e32 v1, v1
	s_delay_alu instid0(VALU_DEP_1) | instskip(NEXT) | instid1(VALU_DEP_1)
	v_readfirstlane_b32 s2, v1
	s_mul_i32 s3, s3, s2
	s_delay_alu instid0(SALU_CYCLE_1) | instskip(NEXT) | instid1(SALU_CYCLE_1)
	s_mul_hi_u32 s3, s2, s3
	s_add_i32 s2, s2, s3
	s_delay_alu instid0(SALU_CYCLE_1) | instskip(NEXT) | instid1(SALU_CYCLE_1)
	s_mul_hi_u32 s2, s6, s2
	s_mul_i32 s3, s2, s9
	s_delay_alu instid0(SALU_CYCLE_1)
	s_sub_i32 s3, s6, s3
	s_add_i32 s6, s2, 1
	s_sub_i32 s7, s3, s9
	s_cmp_ge_u32 s3, s9
	s_cselect_b32 s2, s6, s2
	s_cselect_b32 s3, s7, s3
	s_add_i32 s6, s2, 1
	s_cmp_ge_u32 s3, s9
	s_mov_b32 s3, 0
	s_cselect_b32 s2, s6, s2
.LBB2_5:
	v_mov_b32_e32 v1, 0
	s_add_u32 s2, s2, 1
	s_addc_u32 s3, s3, 0
	s_mul_hi_u32 s6, s8, s2
	s_mul_i32 s3, s8, s3
	v_mad_u64_u32 v[13:14], null, s10, s15, v[0:1]
	s_mul_hi_u32 s7, s11, s10
	s_add_i32 s3, s6, s3
	s_mul_i32 s7, s7, s2
	s_mul_i32 s2, s8, s2
	s_add_i32 s3, s3, s7
	s_mov_b32 s6, exec_lo
	s_lshl_b64 s[2:3], s[2:3], 2
	s_delay_alu instid0(SALU_CYCLE_1)
	v_cmpx_gt_i64_e64 s[2:3], v[13:14]
	s_cbranch_execz .LBB2_26
; %bb.6:
	s_load_b64 s[6:7], s[0:1], 0x40
	v_alignbit_b32 v24, v3, v2, 2
	v_lshrrev_b32_e32 v25, 2, v3
	s_mov_b32 s13, 0x3e9b6dac
	s_waitcnt vmcnt(0)
	v_add_co_u32 v23, null, 0x9e3779b9, v11
	v_add_co_u32 v22, null, 0xdaa66d2b, v11
	;; [unrolled: 1-line block ×4, first 2 shown]
	s_mul_i32 s14, s11, 3
	v_add_co_u32 v28, null, 0xb54cda56, v11
	s_add_i32 s14, s15, s14
	v_add_co_u32 v20, null, 0x5384540f, v11
	s_lshl_b32 s16, s11, 1
	v_add_nc_u32_e32 v18, 0x8ff34781, v11
	s_waitcnt lgkmcnt(0)
	v_cvt_f32_f64_e32 v43, s[6:7]
	s_clause 0x1
	s_load_b64 s[6:7], s[0:1], 0x30
	s_load_b32 s12, s[0:1], 0x38
	s_mov_b32 s0, 0
	s_lshl_b32 s1, s8, 1
	v_add_nc_u32_e32 v19, 0x96a522ad, v12
	s_delay_alu instid0(VALU_DEP_2) | instskip(NEXT) | instid1(VALU_DEP_1)
	v_sub_f32_e32 v1, 1.0, v43
	v_cvt_f64_f32_e32 v[4:5], v1
	s_delay_alu instid0(VALU_DEP_1) | instskip(SKIP_1) | instid1(VALU_DEP_1)
	v_frexp_exp_i32_f64_e32 v4, v[4:5]
	v_frexp_mant_f32_e32 v5, v1
	v_cmp_gt_f32_e32 vcc_lo, 0x3f2aaaab, v5
	s_delay_alu instid0(VALU_DEP_3) | instskip(SKIP_2) | instid1(VALU_DEP_3)
	v_subrev_co_ci_u32_e32 v10, vcc_lo, 0, v4, vcc_lo
	v_add_f32_e32 v4, -1.0, v1
	v_cmp_eq_f32_e32 vcc_lo, 0xff800000, v43
	v_sub_nc_u32_e32 v5, 0, v10
	v_cvt_f32_i32_e32 v10, v10
	s_delay_alu instid0(VALU_DEP_4) | instskip(SKIP_1) | instid1(VALU_DEP_3)
	v_sub_f32_e32 v6, v4, v1
	v_sub_f32_e64 v4, -v43, v4
	v_mul_f32_e32 v37, 0x3f317218, v10
	s_delay_alu instid0(VALU_DEP_3) | instskip(SKIP_1) | instid1(VALU_DEP_1)
	v_add_f32_e32 v6, 1.0, v6
	v_ldexp_f32 v1, v1, v5
	v_dual_add_f32 v4, v4, v6 :: v_dual_add_f32 v7, 1.0, v1
	s_delay_alu instid0(VALU_DEP_1) | instskip(NEXT) | instid1(VALU_DEP_2)
	v_ldexp_f32 v4, v4, v5
	v_dual_add_f32 v6, -1.0, v7 :: v_dual_add_f32 v5, -1.0, v1
	s_delay_alu instid0(VALU_DEP_1) | instskip(NEXT) | instid1(VALU_DEP_2)
	v_sub_f32_e32 v6, v1, v6
	v_add_f32_e32 v8, 1.0, v5
	s_delay_alu instid0(VALU_DEP_1) | instskip(NEXT) | instid1(VALU_DEP_1)
	v_sub_f32_e32 v1, v1, v8
	v_add_f32_e32 v1, v4, v1
	s_delay_alu instid0(VALU_DEP_4) | instskip(NEXT) | instid1(VALU_DEP_2)
	v_add_f32_e32 v6, v4, v6
	v_add_f32_e32 v4, v5, v1
	s_delay_alu instid0(VALU_DEP_1) | instskip(NEXT) | instid1(VALU_DEP_1)
	v_sub_f32_e32 v5, v4, v5
	v_dual_sub_f32 v1, v1, v5 :: v_dual_add_f32 v8, v7, v6
	s_delay_alu instid0(VALU_DEP_1) | instskip(SKIP_3) | instid1(VALU_DEP_2)
	v_rcp_f32_e32 v9, v8
	s_waitcnt_depctr 0xfff
	v_mul_f32_e32 v15, v4, v9
	v_sub_f32_e32 v7, v8, v7
	v_mul_f32_e32 v16, v8, v15
	s_delay_alu instid0(VALU_DEP_2) | instskip(NEXT) | instid1(VALU_DEP_2)
	v_sub_f32_e32 v6, v6, v7
	v_fma_f32 v7, v15, v8, -v16
	s_delay_alu instid0(VALU_DEP_1) | instskip(NEXT) | instid1(VALU_DEP_1)
	v_fmac_f32_e32 v7, v15, v6
	v_add_f32_e32 v17, v16, v7
	s_delay_alu instid0(VALU_DEP_1) | instskip(NEXT) | instid1(VALU_DEP_1)
	v_sub_f32_e32 v26, v4, v17
	v_sub_f32_e32 v4, v4, v26
	s_delay_alu instid0(VALU_DEP_1) | instskip(NEXT) | instid1(VALU_DEP_1)
	v_sub_f32_e32 v4, v4, v17
	v_add_f32_e32 v1, v1, v4
	v_sub_f32_e32 v5, v17, v16
	v_and_b32_e32 v17, 3, v2
	s_delay_alu instid0(VALU_DEP_2) | instskip(NEXT) | instid1(VALU_DEP_1)
	v_sub_f32_e32 v5, v5, v7
	v_add_f32_e32 v4, v5, v1
	v_mad_u64_u32 v[1:2], null, 0xcd9e8d57, v13, 0
	s_delay_alu instid0(VALU_DEP_2) | instskip(NEXT) | instid1(VALU_DEP_2)
	v_add_f32_e32 v5, v26, v4
	v_xor3_b32 v2, v11, v2, v25
	s_delay_alu instid0(VALU_DEP_2) | instskip(NEXT) | instid1(VALU_DEP_1)
	v_mul_f32_e32 v7, v9, v5
	v_mul_f32_e32 v16, v8, v7
	v_dual_mov_b32 v38, v12 :: v_dual_sub_f32 v3, v26, v5
	v_add_co_u32 v26, null, 0x3c6ef372, v11
	s_delay_alu instid0(VALU_DEP_3) | instskip(NEXT) | instid1(VALU_DEP_3)
	v_fma_f32 v8, v7, v8, -v16
	v_add_co_u32 v31, null, 0x76cf5d0a, v38
	s_delay_alu instid0(VALU_DEP_4) | instskip(SKIP_1) | instid1(VALU_DEP_4)
	v_add_f32_e32 v29, v4, v3
	v_mad_u64_u32 v[3:4], null, 0xd2511f53, v24, 0
	v_fmac_f32_e32 v8, v7, v6
	v_add_co_u32 v32, null, 0x32370b8f, v38
	v_add_co_u32 v35, null, 0xa9066899, v38
	s_delay_alu instid0(VALU_DEP_3) | instskip(NEXT) | instid1(VALU_DEP_1)
	v_add_f32_e32 v6, v16, v8
	v_sub_f32_e32 v30, v5, v6
	s_delay_alu instid0(VALU_DEP_1) | instskip(NEXT) | instid1(VALU_DEP_1)
	v_dual_sub_f32 v5, v5, v30 :: v_dual_sub_f32 v16, v6, v16
	v_dual_sub_f32 v5, v5, v6 :: v_dual_sub_f32 v6, v16, v8
	v_add_f32_e32 v16, v15, v7
	v_xor_b32_e32 v8, v4, v12
	s_delay_alu instid0(VALU_DEP_3) | instskip(SKIP_1) | instid1(VALU_DEP_3)
	v_add_f32_e32 v5, v29, v5
	v_add_co_u32 v29, null, 0xf1bbcdc8, v11
	v_xor_b32_e32 v8, v8, v14
	s_delay_alu instid0(VALU_DEP_3) | instskip(SKIP_2) | instid1(VALU_DEP_1)
	v_add_f32_e32 v6, v6, v5
	v_mad_u64_u32 v[4:5], null, 0xd2511f53, v2, 0
	v_sub_f32_e32 v2, v16, v15
	v_sub_f32_e32 v7, v7, v2
	s_delay_alu instid0(VALU_DEP_4) | instskip(SKIP_1) | instid1(VALU_DEP_2)
	v_add_f32_e32 v6, v30, v6
	v_add_co_u32 v30, null, 0xbb67ae85, v38
	v_mul_f32_e32 v6, v9, v6
	s_delay_alu instid0(VALU_DEP_2) | instskip(SKIP_1) | instid1(VALU_DEP_3)
	v_xor3_b32 v9, v30, v5, v3
	v_mad_u64_u32 v[2:3], null, 0xcd9e8d57, v8, 0
	v_add_f32_e32 v15, v7, v6
	s_delay_alu instid0(VALU_DEP_3) | instskip(SKIP_1) | instid1(VALU_DEP_3)
	v_mad_u64_u32 v[5:6], null, 0xcd9e8d57, v9, 0
	v_mad_u64_u32 v[7:8], null, s15, s10, v[0:1]
	v_add_f32_e32 v33, v16, v15
	v_xor3_b32 v3, v23, v3, v1
	s_delay_alu instid0(VALU_DEP_4) | instskip(NEXT) | instid1(VALU_DEP_3)
	v_xor3_b32 v6, v26, v6, v2
	v_mul_f32_e32 v34, v33, v33
	s_delay_alu instid0(VALU_DEP_3) | instskip(NEXT) | instid1(VALU_DEP_3)
	v_mad_u64_u32 v[1:2], null, 0xd2511f53, v3, 0
	v_mad_u64_u32 v[8:9], null, 0xd2511f53, v6, 0
	s_delay_alu instid0(VALU_DEP_3)
	v_fmaak_f32 v3, s13, v34, 0x3ecc95a3
	v_mul_f32_e32 v6, v33, v34
	v_sub_f32_e32 v16, v33, v16
	v_xor3_b32 v4, v31, v2, v4
	s_add_i32 s13, s15, s11
	v_fmaak_f32 v3, v34, v3, 0x3f2aaada
	v_ldexp_f32 v34, v33, 1
	v_xor3_b32 v9, v32, v9, v1
	v_mad_u64_u32 v[1:2], null, 0xcd9e8d57, v4, 0
	s_delay_alu instid0(VALU_DEP_4) | instskip(NEXT) | instid1(VALU_DEP_3)
	v_dual_mul_f32 v6, v6, v3 :: v_dual_mov_b32 v33, v13
	v_mad_u64_u32 v[3:4], null, 0xcd9e8d57, v9, 0
	s_delay_alu instid0(VALU_DEP_2) | instskip(SKIP_3) | instid1(VALU_DEP_3)
	v_dual_sub_f32 v9, v15, v16 :: v_dual_add_f32 v36, v34, v6
	v_fma_f32 v16, 0x3f317218, v10, -v37
	v_xor3_b32 v5, v22, v2, v5
	s_add_i32 s15, s15, s16
	v_ldexp_f32 v9, v9, 1
	s_delay_alu instid0(VALU_DEP_3) | instskip(SKIP_3) | instid1(VALU_DEP_2)
	v_dual_sub_f32 v15, v36, v34 :: v_dual_fmamk_f32 v16, v10, 0xb102e308, v16
	v_add_co_u32 v34, null, 0xed9eba14, v38
	s_waitcnt lgkmcnt(0)
	s_mul_i32 s11, s11, s12
	v_dual_sub_f32 v6, v6, v15 :: v_dual_add_f32 v39, v37, v16
	v_xor3_b32 v15, v27, v4, v1
	v_mad_u64_u32 v[1:2], null, 0xd2511f53, v5, 0
	s_delay_alu instid0(VALU_DEP_3) | instskip(NEXT) | instid1(VALU_DEP_3)
	v_dual_add_f32 v6, v9, v6 :: v_dual_sub_f32 v37, v39, v37
	v_mad_u64_u32 v[4:5], null, 0xd2511f53, v15, 0
	s_mul_i32 s11, s11, s10
	s_delay_alu instid0(VALU_DEP_2) | instskip(NEXT) | instid1(VALU_DEP_4)
	v_add_f32_e32 v40, v36, v6
	v_xor3_b32 v2, v34, v2, v8
	v_mad_u64_u32 v[8:9], null, s13, s10, v[0:1]
	s_lshl_b32 s11, s11, 2
	s_delay_alu instid0(VALU_DEP_3) | instskip(SKIP_2) | instid1(VALU_DEP_3)
	v_add_f32_e32 v41, v39, v40
	v_xor3_b32 v5, v35, v5, v1
	v_mad_u64_u32 v[9:10], null, 0xcd9e8d57, v2, 0
	v_sub_f32_e32 v15, v41, v39
	s_delay_alu instid0(VALU_DEP_3) | instskip(NEXT) | instid1(VALU_DEP_2)
	v_mad_u64_u32 v[1:2], null, 0xcd9e8d57, v5, 0
	v_dual_sub_f32 v42, v16, v37 :: v_dual_sub_f32 v5, v41, v15
	s_delay_alu instid0(VALU_DEP_4) | instskip(SKIP_1) | instid1(VALU_DEP_4)
	v_xor3_b32 v3, v21, v10, v3
	v_sub_f32_e32 v10, v40, v15
	v_xor3_b32 v9, v28, v2, v9
	s_delay_alu instid0(VALU_DEP_4) | instskip(NEXT) | instid1(VALU_DEP_1)
	v_dual_sub_f32 v15, v39, v5 :: v_dual_sub_f32 v36, v40, v36
	v_sub_f32_e32 v44, v6, v36
	v_mad_u64_u32 v[5:6], null, 0xd2511f53, v3, 0
	v_add_co_u32 v36, null, 0x646e171e, v38
	s_delay_alu instid0(VALU_DEP_3) | instskip(SKIP_2) | instid1(VALU_DEP_4)
	v_add_f32_e32 v37, v42, v44
	v_add_f32_e32 v3, v10, v15
	v_mad_u64_u32 v[15:16], null, s14, s10, v[0:1]
	v_xor3_b32 v4, v36, v6, v4
	s_delay_alu instid0(VALU_DEP_3) | instskip(SKIP_1) | instid1(VALU_DEP_3)
	v_add_f32_e32 v16, v37, v3
	v_mad_u64_u32 v[2:3], null, 0xd2511f53, v9, 0
	v_mad_u64_u32 v[9:10], null, 0xcd9e8d57, v4, 0
	s_delay_alu instid0(VALU_DEP_3) | instskip(NEXT) | instid1(VALU_DEP_1)
	v_add_f32_e32 v40, v41, v16
	v_dual_sub_f32 v6, v37, v42 :: v_dual_sub_f32 v39, v40, v41
	s_delay_alu instid0(VALU_DEP_1) | instskip(SKIP_2) | instid1(VALU_DEP_4)
	v_sub_f32_e32 v4, v37, v6
	v_add_co_u32 v37, null, 0x1fd5c5a3, v38
	v_sub_f32_e32 v6, v44, v6
	v_sub_f32_e32 v16, v16, v39
	s_delay_alu instid0(VALU_DEP_4) | instskip(NEXT) | instid1(VALU_DEP_4)
	v_sub_f32_e32 v4, v42, v4
	v_xor3_b32 v3, v37, v3, v5
	v_xor3_b32 v10, v20, v10, v1
	v_mad_u64_u32 v[41:42], null, s15, s10, v[0:1]
	s_delay_alu instid0(VALU_DEP_4) | instskip(NEXT) | instid1(VALU_DEP_4)
	v_add_f32_e32 v6, v6, v4
	v_mad_u64_u32 v[0:1], null, 0xcd9e8d57, v3, 0
	s_delay_alu instid0(VALU_DEP_4) | instskip(NEXT) | instid1(VALU_DEP_3)
	v_mad_u64_u32 v[4:5], null, 0xd2511f53, v10, 0
	v_add_f32_e32 v3, v6, v16
	v_add_co_u32 v38, null, 0xdb3d7428, v38
	v_mul_lo_u32 v39, s12, v7
	v_xor3_b32 v1, v29, v1, v9
	s_delay_alu instid0(VALU_DEP_4) | instskip(NEXT) | instid1(VALU_DEP_4)
	v_add_f32_e32 v3, v40, v3
	v_xor3_b32 v7, v38, v5, v2
	v_cmp_gt_f32_e64 s10, 0x33800000, |v43|
	v_mul_lo_u32 v40, s12, v15
	v_mad_u64_u32 v[5:6], null, 0xd2511f53, v1, 0
	v_cndmask_b32_e64 v3, v3, -v43, vcc_lo
	v_cmp_nlt_f32_e32 vcc_lo, 1.0, v43
	v_mad_u64_u32 v[1:2], null, 0xcd9e8d57, v7, 0
	v_mul_lo_u32 v41, s12, v41
	v_mul_lo_u32 v42, s12, v8
	v_cndmask_b32_e32 v3, 0x7fc00000, v3, vcc_lo
	v_cmp_neq_f32_e32 vcc_lo, 1.0, v43
	v_mov_b32_e32 v44, v14
	s_mov_b32 s12, 0
	v_xor3_b32 v0, v2, v0, v18
	v_xor3_b32 v2, v6, v4, v19
	v_cndmask_b32_e32 v7, 0xff800000, v3, vcc_lo
	v_mov_b32_e32 v3, v5
	s_delay_alu instid0(VALU_DEP_2)
	v_cndmask_b32_e64 v43, v7, -v43, s10
	s_mul_i32 s10, s8, 3
	s_branch .LBB2_8
.LBB2_7:                                ;   in Loop: Header=BB2_8 Depth=1
	s_or_b32 exec_lo, exec_lo, s13
	v_add_co_u32 v13, vcc_lo, v13, s9
	v_add_co_ci_u32_e32 v14, vcc_lo, 0, v14, vcc_lo
	v_mov_b32_e32 v7, v15
	v_dual_mov_b32 v0, v4 :: v_dual_mov_b32 v1, v5
	s_delay_alu instid0(VALU_DEP_3) | instskip(NEXT) | instid1(VALU_DEP_3)
	v_cmp_le_i64_e32 vcc_lo, s[2:3], v[13:14]
	v_dual_mov_b32 v2, v6 :: v_dual_mov_b32 v3, v7
	s_add_i32 s12, s12, s11
	s_waitcnt_vscnt null, 0x0
	s_barrier
	s_or_b32 s0, vcc_lo, s0
	buffer_gl0_inv
	s_and_not1_b32 exec_lo, exec_lo, s0
	s_cbranch_execz .LBB2_26
.LBB2_8:                                ; =>This Inner Loop Header: Depth=1
	v_add_co_u32 v24, vcc_lo, v24, 1
	s_delay_alu instid0(VALU_DEP_1) | instskip(SKIP_2) | instid1(VALU_DEP_1)
	v_cndmask_b32_e64 v4, 0, 1, vcc_lo
	v_add_co_ci_u32_e32 v25, vcc_lo, 0, v25, vcc_lo
	s_mov_b32 s13, exec_lo
	v_cmp_eq_u32_e32 vcc_lo, 0, v25
	s_delay_alu instid0(VALU_DEP_3) | instskip(NEXT) | instid1(VALU_DEP_1)
	v_cndmask_b32_e32 v4, 0, v4, vcc_lo
	v_add_nc_u32_e32 v33, v4, v33
	s_delay_alu instid0(VALU_DEP_1) | instskip(SKIP_2) | instid1(VALU_DEP_2)
	v_cmp_eq_u32_e32 vcc_lo, 0, v33
	v_cndmask_b32_e32 v4, 0, v4, vcc_lo
	v_mad_u64_u32 v[6:7], null, 0xcd9e8d57, v33, 0
	v_add_nc_u32_e32 v44, v4, v44
	v_mad_u64_u32 v[4:5], null, 0xd2511f53, v24, 0
	s_delay_alu instid0(VALU_DEP_3) | instskip(NEXT) | instid1(VALU_DEP_2)
	v_xor3_b32 v9, v7, v11, v25
	v_xor_b32_e32 v5, v5, v12
	s_delay_alu instid0(VALU_DEP_2) | instskip(NEXT) | instid1(VALU_DEP_2)
	v_mad_u64_u32 v[7:8], null, 0xd2511f53, v9, 0
	v_xor_b32_e32 v5, v44, v5
	s_delay_alu instid0(VALU_DEP_2) | instskip(NEXT) | instid1(VALU_DEP_2)
	v_xor3_b32 v8, v30, v8, v4
	v_mad_u64_u32 v[9:10], null, 0xcd9e8d57, v5, 0
	s_delay_alu instid0(VALU_DEP_2) | instskip(NEXT) | instid1(VALU_DEP_2)
	v_mad_u64_u32 v[4:5], null, 0xcd9e8d57, v8, 0
	v_xor3_b32 v6, v23, v10, v6
	s_delay_alu instid0(VALU_DEP_2) | instskip(NEXT) | instid1(VALU_DEP_2)
	v_xor3_b32 v8, v26, v5, v9
	v_mad_u64_u32 v[15:16], null, 0xd2511f53, v6, 0
	s_delay_alu instid0(VALU_DEP_2) | instskip(NEXT) | instid1(VALU_DEP_2)
	v_mad_u64_u32 v[5:6], null, 0xd2511f53, v8, 0
	v_xor3_b32 v9, v31, v16, v7
	s_delay_alu instid0(VALU_DEP_2) | instskip(NEXT) | instid1(VALU_DEP_2)
	v_xor3_b32 v6, v32, v6, v15
	v_mad_u64_u32 v[7:8], null, 0xcd9e8d57, v9, 0
	s_delay_alu instid0(VALU_DEP_1) | instskip(NEXT) | instid1(VALU_DEP_3)
	v_xor3_b32 v4, v22, v8, v4
	v_mad_u64_u32 v[8:9], null, 0xcd9e8d57, v6, 0
	s_delay_alu instid0(VALU_DEP_2) | instskip(NEXT) | instid1(VALU_DEP_2)
	v_mad_u64_u32 v[15:16], null, 0xd2511f53, v4, 0
	v_xor3_b32 v6, v27, v9, v7
	s_delay_alu instid0(VALU_DEP_2) | instskip(NEXT) | instid1(VALU_DEP_2)
	v_xor3_b32 v9, v34, v16, v5
	v_mad_u64_u32 v[4:5], null, 0xd2511f53, v6, 0
	s_delay_alu instid0(VALU_DEP_2) | instskip(NEXT) | instid1(VALU_DEP_2)
	v_mad_u64_u32 v[6:7], null, 0xcd9e8d57, v9, 0
	v_xor3_b32 v5, v35, v5, v15
	s_delay_alu instid0(VALU_DEP_2) | instskip(NEXT) | instid1(VALU_DEP_2)
	v_xor3_b32 v15, v21, v7, v8
	v_mad_u64_u32 v[7:8], null, 0xcd9e8d57, v5, 0
	s_delay_alu instid0(VALU_DEP_2) | instskip(NEXT) | instid1(VALU_DEP_2)
	v_mad_u64_u32 v[9:10], null, 0xd2511f53, v15, 0
	v_xor3_b32 v6, v28, v8, v6
	s_delay_alu instid0(VALU_DEP_2) | instskip(NEXT) | instid1(VALU_DEP_2)
	v_xor3_b32 v8, v36, v10, v4
	v_mad_u64_u32 v[4:5], null, 0xd2511f53, v6, 0
	s_delay_alu instid0(VALU_DEP_2) | instskip(NEXT) | instid1(VALU_DEP_2)
	v_mad_u64_u32 v[15:16], null, 0xcd9e8d57, v8, 0
	v_xor3_b32 v5, v37, v5, v9
	s_delay_alu instid0(VALU_DEP_2) | instskip(NEXT) | instid1(VALU_DEP_2)
	v_xor3_b32 v6, v20, v16, v7
	v_mad_u64_u32 v[7:8], null, 0xcd9e8d57, v5, 0
	s_delay_alu instid0(VALU_DEP_2) | instskip(NEXT) | instid1(VALU_DEP_2)
	v_mad_u64_u32 v[9:10], null, 0xd2511f53, v6, 0
	v_xor3_b32 v5, v29, v8, v15
	s_delay_alu instid0(VALU_DEP_2) | instskip(NEXT) | instid1(VALU_DEP_2)
	v_xor3_b32 v4, v38, v10, v4
	v_mad_u64_u32 v[15:16], null, 0xd2511f53, v5, 0
	s_delay_alu instid0(VALU_DEP_2) | instskip(NEXT) | instid1(VALU_DEP_2)
	v_mad_u64_u32 v[5:6], null, 0xcd9e8d57, v4, 0
	v_xor3_b32 v10, v16, v9, v19
	s_delay_alu instid0(VALU_DEP_2) | instskip(NEXT) | instid1(VALU_DEP_2)
	v_xor3_b32 v4, v6, v7, v18
	v_mov_b32_e32 v6, v10
	v_cmpx_lt_i32_e32 1, v17
	s_xor_b32 s13, exec_lo, s13
	s_cbranch_execnz .LBB2_18
; %bb.9:                                ;   in Loop: Header=BB2_8 Depth=1
	s_and_not1_saveexec_b32 s13, s13
	s_cbranch_execnz .LBB2_23
.LBB2_10:                               ;   in Loop: Header=BB2_8 Depth=1
	s_or_b32 exec_lo, exec_lo, s13
	s_delay_alu instid0(SALU_CYCLE_1)
	s_mov_b32 s13, exec_lo
	v_cmpx_gt_i64_e64 s[4:5], v[13:14]
	s_cbranch_execz .LBB2_12
.LBB2_11:                               ;   in Loop: Header=BB2_8 Depth=1
	v_cvt_f32_u32_e32 v0, v0
	s_delay_alu instid0(VALU_DEP_1) | instskip(NEXT) | instid1(VALU_DEP_1)
	v_fmaak_f32 v0, 0x2f800000, v0, 0x2f800000
	v_cmp_gt_f32_e32 vcc_lo, 0x800000, v0
	v_cndmask_b32_e64 v7, 1.0, 0x4f800000, vcc_lo
	s_delay_alu instid0(VALU_DEP_1) | instskip(NEXT) | instid1(VALU_DEP_1)
	v_mul_f32_e32 v0, v0, v7
	v_log_f32_e32 v0, v0
	s_waitcnt_depctr 0xfff
	v_mul_f32_e32 v7, 0x3f317217, v0
	s_delay_alu instid0(VALU_DEP_1) | instskip(NEXT) | instid1(VALU_DEP_1)
	v_fma_f32 v8, 0x3f317217, v0, -v7
	v_fmac_f32_e32 v8, 0x3377d1cf, v0
	s_delay_alu instid0(VALU_DEP_1) | instskip(SKIP_2) | instid1(VALU_DEP_3)
	v_add_f32_e32 v7, v7, v8
	v_cndmask_b32_e64 v8, 0, 0x41b17218, vcc_lo
	v_cmp_gt_f32_e64 vcc_lo, 0x7f800000, |v0|
	v_cndmask_b32_e32 v0, v0, v7, vcc_lo
	s_delay_alu instid0(VALU_DEP_1) | instskip(NEXT) | instid1(VALU_DEP_1)
	v_sub_f32_e32 v0, v0, v8
	v_div_scale_f32 v7, null, v43, v43, v0
	s_delay_alu instid0(VALU_DEP_1) | instskip(SKIP_2) | instid1(VALU_DEP_1)
	v_rcp_f32_e32 v8, v7
	s_waitcnt_depctr 0xfff
	v_fma_f32 v9, -v7, v8, 1.0
	v_fmac_f32_e32 v8, v9, v8
	v_div_scale_f32 v9, vcc_lo, v0, v43, v0
	s_delay_alu instid0(VALU_DEP_1) | instskip(NEXT) | instid1(VALU_DEP_1)
	v_mul_f32_e32 v10, v9, v8
	v_fma_f32 v16, -v7, v10, v9
	s_delay_alu instid0(VALU_DEP_1) | instskip(NEXT) | instid1(VALU_DEP_1)
	v_fmac_f32_e32 v10, v16, v8
	v_fma_f32 v7, -v7, v10, v9
	s_delay_alu instid0(VALU_DEP_1) | instskip(SKIP_1) | instid1(VALU_DEP_2)
	v_div_fmas_f32 v7, v7, v8, v10
	v_add_nc_u32_e32 v8, s12, v39
	v_div_fixup_f32 v0, v7, v43, v0
	s_delay_alu instid0(VALU_DEP_2) | instskip(SKIP_1) | instid1(VALU_DEP_3)
	v_ashrrev_i32_e32 v9, 31, v8
	v_add_co_u32 v7, vcc_lo, s6, v8
	v_ceil_f32_e32 v0, v0
	s_delay_alu instid0(VALU_DEP_3) | instskip(NEXT) | instid1(VALU_DEP_2)
	v_add_co_ci_u32_e32 v8, vcc_lo, s7, v9, vcc_lo
	v_cvt_i32_f32_e32 v0, v0
	global_store_b8 v[7:8], v0, off
.LBB2_12:                               ;   in Loop: Header=BB2_8 Depth=1
	s_or_b32 exec_lo, exec_lo, s13
	v_add_co_u32 v7, vcc_lo, s8, v13
	v_add_co_ci_u32_e32 v8, vcc_lo, 0, v14, vcc_lo
	s_mov_b32 s13, exec_lo
	s_delay_alu instid0(VALU_DEP_1)
	v_cmpx_gt_i64_e64 s[4:5], v[7:8]
	s_cbranch_execz .LBB2_14
; %bb.13:                               ;   in Loop: Header=BB2_8 Depth=1
	v_cvt_f32_u32_e32 v0, v1
	s_delay_alu instid0(VALU_DEP_1) | instskip(NEXT) | instid1(VALU_DEP_1)
	v_fmaak_f32 v0, 0x2f800000, v0, 0x2f800000
	v_cmp_gt_f32_e32 vcc_lo, 0x800000, v0
	v_cndmask_b32_e64 v1, 1.0, 0x4f800000, vcc_lo
	s_delay_alu instid0(VALU_DEP_1) | instskip(NEXT) | instid1(VALU_DEP_1)
	v_mul_f32_e32 v0, v0, v1
	v_log_f32_e32 v0, v0
	s_waitcnt_depctr 0xfff
	v_mul_f32_e32 v1, 0x3f317217, v0
	s_delay_alu instid0(VALU_DEP_1) | instskip(NEXT) | instid1(VALU_DEP_1)
	v_fma_f32 v7, 0x3f317217, v0, -v1
	v_fmac_f32_e32 v7, 0x3377d1cf, v0
	s_delay_alu instid0(VALU_DEP_1) | instskip(SKIP_2) | instid1(VALU_DEP_3)
	v_add_f32_e32 v1, v1, v7
	v_cndmask_b32_e64 v7, 0, 0x41b17218, vcc_lo
	v_cmp_gt_f32_e64 vcc_lo, 0x7f800000, |v0|
	v_cndmask_b32_e32 v0, v0, v1, vcc_lo
	s_delay_alu instid0(VALU_DEP_1) | instskip(NEXT) | instid1(VALU_DEP_1)
	v_sub_f32_e32 v0, v0, v7
	v_div_scale_f32 v1, null, v43, v43, v0
	s_delay_alu instid0(VALU_DEP_1) | instskip(SKIP_2) | instid1(VALU_DEP_1)
	v_rcp_f32_e32 v7, v1
	s_waitcnt_depctr 0xfff
	v_fma_f32 v8, -v1, v7, 1.0
	v_fmac_f32_e32 v7, v8, v7
	v_div_scale_f32 v8, vcc_lo, v0, v43, v0
	s_delay_alu instid0(VALU_DEP_1) | instskip(NEXT) | instid1(VALU_DEP_1)
	v_mul_f32_e32 v9, v8, v7
	v_fma_f32 v10, -v1, v9, v8
	s_delay_alu instid0(VALU_DEP_1) | instskip(NEXT) | instid1(VALU_DEP_1)
	v_fmac_f32_e32 v9, v10, v7
	v_fma_f32 v1, -v1, v9, v8
	s_delay_alu instid0(VALU_DEP_1) | instskip(SKIP_1) | instid1(VALU_DEP_2)
	v_div_fmas_f32 v1, v1, v7, v9
	v_add_nc_u32_e32 v7, s12, v42
	v_div_fixup_f32 v0, v1, v43, v0
	s_delay_alu instid0(VALU_DEP_2) | instskip(NEXT) | instid1(VALU_DEP_2)
	v_ashrrev_i32_e32 v1, 31, v7
	v_ceil_f32_e32 v8, v0
	v_add_co_u32 v0, vcc_lo, s6, v7
	s_delay_alu instid0(VALU_DEP_3) | instskip(NEXT) | instid1(VALU_DEP_3)
	v_add_co_ci_u32_e32 v1, vcc_lo, s7, v1, vcc_lo
	v_cvt_i32_f32_e32 v7, v8
	global_store_b8 v[0:1], v7, off
.LBB2_14:                               ;   in Loop: Header=BB2_8 Depth=1
	s_or_b32 exec_lo, exec_lo, s13
	v_add_co_u32 v0, vcc_lo, s1, v13
	v_add_co_ci_u32_e32 v1, vcc_lo, 0, v14, vcc_lo
	s_mov_b32 s13, exec_lo
	s_delay_alu instid0(VALU_DEP_1)
	v_cmpx_gt_i64_e64 s[4:5], v[0:1]
	s_cbranch_execz .LBB2_16
; %bb.15:                               ;   in Loop: Header=BB2_8 Depth=1
	v_cvt_f32_u32_e32 v0, v2
	s_delay_alu instid0(VALU_DEP_1) | instskip(NEXT) | instid1(VALU_DEP_1)
	v_fmaak_f32 v0, 0x2f800000, v0, 0x2f800000
	v_cmp_gt_f32_e32 vcc_lo, 0x800000, v0
	v_cndmask_b32_e64 v1, 1.0, 0x4f800000, vcc_lo
	s_delay_alu instid0(VALU_DEP_1) | instskip(NEXT) | instid1(VALU_DEP_1)
	v_mul_f32_e32 v0, v0, v1
	v_log_f32_e32 v0, v0
	s_waitcnt_depctr 0xfff
	v_mul_f32_e32 v1, 0x3f317217, v0
	s_delay_alu instid0(VALU_DEP_1) | instskip(NEXT) | instid1(VALU_DEP_1)
	v_fma_f32 v2, 0x3f317217, v0, -v1
	v_fmac_f32_e32 v2, 0x3377d1cf, v0
	s_delay_alu instid0(VALU_DEP_1) | instskip(SKIP_2) | instid1(VALU_DEP_3)
	v_add_f32_e32 v1, v1, v2
	v_cndmask_b32_e64 v2, 0, 0x41b17218, vcc_lo
	v_cmp_gt_f32_e64 vcc_lo, 0x7f800000, |v0|
	v_cndmask_b32_e32 v0, v0, v1, vcc_lo
	s_delay_alu instid0(VALU_DEP_1) | instskip(NEXT) | instid1(VALU_DEP_1)
	v_sub_f32_e32 v0, v0, v2
	v_div_scale_f32 v1, null, v43, v43, v0
	s_delay_alu instid0(VALU_DEP_1) | instskip(SKIP_2) | instid1(VALU_DEP_1)
	v_rcp_f32_e32 v2, v1
	s_waitcnt_depctr 0xfff
	v_fma_f32 v7, -v1, v2, 1.0
	v_fmac_f32_e32 v2, v7, v2
	v_div_scale_f32 v7, vcc_lo, v0, v43, v0
	s_delay_alu instid0(VALU_DEP_1) | instskip(NEXT) | instid1(VALU_DEP_1)
	v_mul_f32_e32 v8, v7, v2
	v_fma_f32 v9, -v1, v8, v7
	s_delay_alu instid0(VALU_DEP_1) | instskip(NEXT) | instid1(VALU_DEP_1)
	v_fmac_f32_e32 v8, v9, v2
	v_fma_f32 v1, -v1, v8, v7
	s_delay_alu instid0(VALU_DEP_1) | instskip(SKIP_1) | instid1(VALU_DEP_2)
	v_div_fmas_f32 v1, v1, v2, v8
	v_add_nc_u32_e32 v2, s12, v41
	v_div_fixup_f32 v0, v1, v43, v0
	s_delay_alu instid0(VALU_DEP_2) | instskip(NEXT) | instid1(VALU_DEP_2)
	v_ashrrev_i32_e32 v1, 31, v2
	v_ceil_f32_e32 v7, v0
	v_add_co_u32 v0, vcc_lo, s6, v2
	s_delay_alu instid0(VALU_DEP_3) | instskip(NEXT) | instid1(VALU_DEP_3)
	v_add_co_ci_u32_e32 v1, vcc_lo, s7, v1, vcc_lo
	v_cvt_i32_f32_e32 v2, v7
	global_store_b8 v[0:1], v2, off
.LBB2_16:                               ;   in Loop: Header=BB2_8 Depth=1
	s_or_b32 exec_lo, exec_lo, s13
	v_add_co_u32 v0, vcc_lo, s10, v13
	v_add_co_ci_u32_e32 v1, vcc_lo, 0, v14, vcc_lo
	s_mov_b32 s13, exec_lo
	s_delay_alu instid0(VALU_DEP_1)
	v_cmpx_gt_i64_e64 s[4:5], v[0:1]
	s_cbranch_execz .LBB2_7
; %bb.17:                               ;   in Loop: Header=BB2_8 Depth=1
	v_cvt_f32_u32_e32 v0, v3
	s_delay_alu instid0(VALU_DEP_1) | instskip(NEXT) | instid1(VALU_DEP_1)
	v_fmaak_f32 v0, 0x2f800000, v0, 0x2f800000
	v_cmp_gt_f32_e32 vcc_lo, 0x800000, v0
	v_cndmask_b32_e64 v1, 1.0, 0x4f800000, vcc_lo
	s_delay_alu instid0(VALU_DEP_1) | instskip(NEXT) | instid1(VALU_DEP_1)
	v_mul_f32_e32 v0, v0, v1
	v_log_f32_e32 v0, v0
	s_waitcnt_depctr 0xfff
	v_mul_f32_e32 v1, 0x3f317217, v0
	s_delay_alu instid0(VALU_DEP_1) | instskip(NEXT) | instid1(VALU_DEP_1)
	v_fma_f32 v2, 0x3f317217, v0, -v1
	v_fmac_f32_e32 v2, 0x3377d1cf, v0
	s_delay_alu instid0(VALU_DEP_1) | instskip(SKIP_2) | instid1(VALU_DEP_3)
	v_add_f32_e32 v1, v1, v2
	v_cndmask_b32_e64 v2, 0, 0x41b17218, vcc_lo
	v_cmp_gt_f32_e64 vcc_lo, 0x7f800000, |v0|
	v_cndmask_b32_e32 v0, v0, v1, vcc_lo
	s_delay_alu instid0(VALU_DEP_1) | instskip(NEXT) | instid1(VALU_DEP_1)
	v_sub_f32_e32 v0, v0, v2
	v_div_scale_f32 v1, null, v43, v43, v0
	s_delay_alu instid0(VALU_DEP_1) | instskip(SKIP_2) | instid1(VALU_DEP_1)
	v_rcp_f32_e32 v2, v1
	s_waitcnt_depctr 0xfff
	v_fma_f32 v3, -v1, v2, 1.0
	v_fmac_f32_e32 v2, v3, v2
	v_div_scale_f32 v3, vcc_lo, v0, v43, v0
	s_delay_alu instid0(VALU_DEP_1) | instskip(NEXT) | instid1(VALU_DEP_1)
	v_mul_f32_e32 v7, v3, v2
	v_fma_f32 v8, -v1, v7, v3
	s_delay_alu instid0(VALU_DEP_1) | instskip(NEXT) | instid1(VALU_DEP_1)
	v_fmac_f32_e32 v7, v8, v2
	v_fma_f32 v1, -v1, v7, v3
	s_delay_alu instid0(VALU_DEP_1) | instskip(SKIP_1) | instid1(VALU_DEP_2)
	v_div_fmas_f32 v1, v1, v2, v7
	v_add_nc_u32_e32 v2, s12, v40
	v_div_fixup_f32 v0, v1, v43, v0
	s_delay_alu instid0(VALU_DEP_2) | instskip(NEXT) | instid1(VALU_DEP_2)
	v_ashrrev_i32_e32 v1, 31, v2
	v_ceil_f32_e32 v3, v0
	v_add_co_u32 v0, vcc_lo, s6, v2
	s_delay_alu instid0(VALU_DEP_3) | instskip(NEXT) | instid1(VALU_DEP_3)
	v_add_co_ci_u32_e32 v1, vcc_lo, s7, v1, vcc_lo
	v_cvt_i32_f32_e32 v2, v3
	global_store_b8 v[0:1], v2, off
	s_branch .LBB2_7
.LBB2_18:                               ;   in Loop: Header=BB2_8 Depth=1
	s_mov_b32 s14, exec_lo
	v_cmpx_lt_i32_e32 2, v17
	s_xor_b32 s14, exec_lo, s14
; %bb.19:                               ;   in Loop: Header=BB2_8 Depth=1
	v_dual_mov_b32 v7, v3 :: v_dual_mov_b32 v8, v4
	v_mov_b32_e32 v9, v5
	s_delay_alu instid0(VALU_DEP_2) | instskip(NEXT) | instid1(VALU_DEP_2)
	v_dual_mov_b32 v0, v7 :: v_dual_mov_b32 v1, v8
	v_dual_mov_b32 v2, v9 :: v_dual_mov_b32 v3, v10
; %bb.20:                               ;   in Loop: Header=BB2_8 Depth=1
	s_and_not1_saveexec_b32 s14, s14
; %bb.21:                               ;   in Loop: Header=BB2_8 Depth=1
	s_delay_alu instid0(VALU_DEP_1)
	v_dual_mov_b32 v0, v2 :: v_dual_mov_b32 v1, v3
	v_dual_mov_b32 v2, v4 :: v_dual_mov_b32 v3, v5
; %bb.22:                               ;   in Loop: Header=BB2_8 Depth=1
	s_or_b32 exec_lo, exec_lo, s14
	s_and_not1_saveexec_b32 s13, s13
	s_cbranch_execz .LBB2_10
.LBB2_23:                               ;   in Loop: Header=BB2_8 Depth=1
	s_mov_b32 s14, exec_lo
	v_cmpx_eq_u32_e32 1, v17
; %bb.24:                               ;   in Loop: Header=BB2_8 Depth=1
	v_dual_mov_b32 v0, v1 :: v_dual_mov_b32 v1, v2
	v_dual_mov_b32 v2, v3 :: v_dual_mov_b32 v3, v4
; %bb.25:                               ;   in Loop: Header=BB2_8 Depth=1
	s_or_b32 exec_lo, exec_lo, s14
	s_delay_alu instid0(SALU_CYCLE_1) | instskip(NEXT) | instid1(SALU_CYCLE_1)
	s_or_b32 exec_lo, exec_lo, s13
	s_mov_b32 s13, exec_lo
	v_cmpx_gt_i64_e64 s[4:5], v[13:14]
	s_cbranch_execnz .LBB2_11
	s_branch .LBB2_12
.LBB2_26:
	s_endpgm
.LBB2_27:
                                        ; implicit-def: $sgpr2_sgpr3
	s_branch .LBB2_4
	.section	.rodata,"a",@progbits
	.p2align	6, 0x0
	.amdhsa_kernel _ZN2at6native12_GLOBAL__N_143distribution_elementwise_grid_stride_kernelIfLi4EZNS0_9templates4cuda21uniform_and_transformIhfPNS_17CUDAGeneratorImplEZZZNS4_16geometric_kernelIS7_EEvRNS_18TensorIteratorBaseEdT_ENKUlvE_clEvENKUlvE_clEvEUlfE_EEvSA_T1_T2_EUlP25hiprandStatePhilox4_32_10E0_ZNS1_27distribution_nullary_kernelIhf15HIP_vector_typeIfLj4EES7_SJ_SE_EEvSA_SG_RKT3_T4_EUlifE_EEvlNS_15PhiloxCudaStateESF_SG_
		.amdhsa_group_segment_fixed_size 0
		.amdhsa_private_segment_fixed_size 0
		.amdhsa_kernarg_size 328
		.amdhsa_user_sgpr_count 15
		.amdhsa_user_sgpr_dispatch_ptr 0
		.amdhsa_user_sgpr_queue_ptr 0
		.amdhsa_user_sgpr_kernarg_segment_ptr 1
		.amdhsa_user_sgpr_dispatch_id 0
		.amdhsa_user_sgpr_private_segment_size 0
		.amdhsa_wavefront_size32 1
		.amdhsa_uses_dynamic_stack 0
		.amdhsa_enable_private_segment 0
		.amdhsa_system_sgpr_workgroup_id_x 1
		.amdhsa_system_sgpr_workgroup_id_y 0
		.amdhsa_system_sgpr_workgroup_id_z 0
		.amdhsa_system_sgpr_workgroup_info 0
		.amdhsa_system_vgpr_workitem_id 0
		.amdhsa_next_free_vgpr 45
		.amdhsa_next_free_sgpr 23
		.amdhsa_reserve_vcc 1
		.amdhsa_float_round_mode_32 0
		.amdhsa_float_round_mode_16_64 0
		.amdhsa_float_denorm_mode_32 3
		.amdhsa_float_denorm_mode_16_64 3
		.amdhsa_dx10_clamp 1
		.amdhsa_ieee_mode 1
		.amdhsa_fp16_overflow 0
		.amdhsa_workgroup_processor_mode 1
		.amdhsa_memory_ordered 1
		.amdhsa_forward_progress 0
		.amdhsa_shared_vgpr_count 0
		.amdhsa_exception_fp_ieee_invalid_op 0
		.amdhsa_exception_fp_denorm_src 0
		.amdhsa_exception_fp_ieee_div_zero 0
		.amdhsa_exception_fp_ieee_overflow 0
		.amdhsa_exception_fp_ieee_underflow 0
		.amdhsa_exception_fp_ieee_inexact 0
		.amdhsa_exception_int_div_zero 0
	.end_amdhsa_kernel
	.section	.text._ZN2at6native12_GLOBAL__N_143distribution_elementwise_grid_stride_kernelIfLi4EZNS0_9templates4cuda21uniform_and_transformIhfPNS_17CUDAGeneratorImplEZZZNS4_16geometric_kernelIS7_EEvRNS_18TensorIteratorBaseEdT_ENKUlvE_clEvENKUlvE_clEvEUlfE_EEvSA_T1_T2_EUlP25hiprandStatePhilox4_32_10E0_ZNS1_27distribution_nullary_kernelIhf15HIP_vector_typeIfLj4EES7_SJ_SE_EEvSA_SG_RKT3_T4_EUlifE_EEvlNS_15PhiloxCudaStateESF_SG_,"axG",@progbits,_ZN2at6native12_GLOBAL__N_143distribution_elementwise_grid_stride_kernelIfLi4EZNS0_9templates4cuda21uniform_and_transformIhfPNS_17CUDAGeneratorImplEZZZNS4_16geometric_kernelIS7_EEvRNS_18TensorIteratorBaseEdT_ENKUlvE_clEvENKUlvE_clEvEUlfE_EEvSA_T1_T2_EUlP25hiprandStatePhilox4_32_10E0_ZNS1_27distribution_nullary_kernelIhf15HIP_vector_typeIfLj4EES7_SJ_SE_EEvSA_SG_RKT3_T4_EUlifE_EEvlNS_15PhiloxCudaStateESF_SG_,comdat
.Lfunc_end2:
	.size	_ZN2at6native12_GLOBAL__N_143distribution_elementwise_grid_stride_kernelIfLi4EZNS0_9templates4cuda21uniform_and_transformIhfPNS_17CUDAGeneratorImplEZZZNS4_16geometric_kernelIS7_EEvRNS_18TensorIteratorBaseEdT_ENKUlvE_clEvENKUlvE_clEvEUlfE_EEvSA_T1_T2_EUlP25hiprandStatePhilox4_32_10E0_ZNS1_27distribution_nullary_kernelIhf15HIP_vector_typeIfLj4EES7_SJ_SE_EEvSA_SG_RKT3_T4_EUlifE_EEvlNS_15PhiloxCudaStateESF_SG_, .Lfunc_end2-_ZN2at6native12_GLOBAL__N_143distribution_elementwise_grid_stride_kernelIfLi4EZNS0_9templates4cuda21uniform_and_transformIhfPNS_17CUDAGeneratorImplEZZZNS4_16geometric_kernelIS7_EEvRNS_18TensorIteratorBaseEdT_ENKUlvE_clEvENKUlvE_clEvEUlfE_EEvSA_T1_T2_EUlP25hiprandStatePhilox4_32_10E0_ZNS1_27distribution_nullary_kernelIhf15HIP_vector_typeIfLj4EES7_SJ_SE_EEvSA_SG_RKT3_T4_EUlifE_EEvlNS_15PhiloxCudaStateESF_SG_
                                        ; -- End function
	.section	.AMDGPU.csdata,"",@progbits
; Kernel info:
; codeLenInByte = 4416
; NumSgprs: 25
; NumVgprs: 45
; ScratchSize: 0
; MemoryBound: 0
; FloatMode: 240
; IeeeMode: 1
; LDSByteSize: 0 bytes/workgroup (compile time only)
; SGPRBlocks: 3
; VGPRBlocks: 5
; NumSGPRsForWavesPerEU: 25
; NumVGPRsForWavesPerEU: 45
; Occupancy: 16
; WaveLimiterHint : 0
; COMPUTE_PGM_RSRC2:SCRATCH_EN: 0
; COMPUTE_PGM_RSRC2:USER_SGPR: 15
; COMPUTE_PGM_RSRC2:TRAP_HANDLER: 0
; COMPUTE_PGM_RSRC2:TGID_X_EN: 1
; COMPUTE_PGM_RSRC2:TGID_Y_EN: 0
; COMPUTE_PGM_RSRC2:TGID_Z_EN: 0
; COMPUTE_PGM_RSRC2:TIDIG_COMP_CNT: 0
	.section	.text._ZN2at6native12_GLOBAL__N_143distribution_elementwise_grid_stride_kernelIfLi4EZNS0_9templates4cuda21uniform_and_transformIhfPNS_17CUDAGeneratorImplEZZZNS4_16geometric_kernelIS7_EEvRNS_18TensorIteratorBaseEdT_ENKUlvE_clEvENKUlvE_clEvEUlfE_EEvSA_T1_T2_EUlP25hiprandStatePhilox4_32_10E0_ZNS1_27distribution_nullary_kernelIhf15HIP_vector_typeIfLj4EES7_SJ_SE_EEvSA_SG_RKT3_T4_EUlifE0_EEvlNS_15PhiloxCudaStateESF_SG_,"axG",@progbits,_ZN2at6native12_GLOBAL__N_143distribution_elementwise_grid_stride_kernelIfLi4EZNS0_9templates4cuda21uniform_and_transformIhfPNS_17CUDAGeneratorImplEZZZNS4_16geometric_kernelIS7_EEvRNS_18TensorIteratorBaseEdT_ENKUlvE_clEvENKUlvE_clEvEUlfE_EEvSA_T1_T2_EUlP25hiprandStatePhilox4_32_10E0_ZNS1_27distribution_nullary_kernelIhf15HIP_vector_typeIfLj4EES7_SJ_SE_EEvSA_SG_RKT3_T4_EUlifE0_EEvlNS_15PhiloxCudaStateESF_SG_,comdat
	.globl	_ZN2at6native12_GLOBAL__N_143distribution_elementwise_grid_stride_kernelIfLi4EZNS0_9templates4cuda21uniform_and_transformIhfPNS_17CUDAGeneratorImplEZZZNS4_16geometric_kernelIS7_EEvRNS_18TensorIteratorBaseEdT_ENKUlvE_clEvENKUlvE_clEvEUlfE_EEvSA_T1_T2_EUlP25hiprandStatePhilox4_32_10E0_ZNS1_27distribution_nullary_kernelIhf15HIP_vector_typeIfLj4EES7_SJ_SE_EEvSA_SG_RKT3_T4_EUlifE0_EEvlNS_15PhiloxCudaStateESF_SG_ ; -- Begin function _ZN2at6native12_GLOBAL__N_143distribution_elementwise_grid_stride_kernelIfLi4EZNS0_9templates4cuda21uniform_and_transformIhfPNS_17CUDAGeneratorImplEZZZNS4_16geometric_kernelIS7_EEvRNS_18TensorIteratorBaseEdT_ENKUlvE_clEvENKUlvE_clEvEUlfE_EEvSA_T1_T2_EUlP25hiprandStatePhilox4_32_10E0_ZNS1_27distribution_nullary_kernelIhf15HIP_vector_typeIfLj4EES7_SJ_SE_EEvSA_SG_RKT3_T4_EUlifE0_EEvlNS_15PhiloxCudaStateESF_SG_
	.p2align	8
	.type	_ZN2at6native12_GLOBAL__N_143distribution_elementwise_grid_stride_kernelIfLi4EZNS0_9templates4cuda21uniform_and_transformIhfPNS_17CUDAGeneratorImplEZZZNS4_16geometric_kernelIS7_EEvRNS_18TensorIteratorBaseEdT_ENKUlvE_clEvENKUlvE_clEvEUlfE_EEvSA_T1_T2_EUlP25hiprandStatePhilox4_32_10E0_ZNS1_27distribution_nullary_kernelIhf15HIP_vector_typeIfLj4EES7_SJ_SE_EEvSA_SG_RKT3_T4_EUlifE0_EEvlNS_15PhiloxCudaStateESF_SG_,@function
_ZN2at6native12_GLOBAL__N_143distribution_elementwise_grid_stride_kernelIfLi4EZNS0_9templates4cuda21uniform_and_transformIhfPNS_17CUDAGeneratorImplEZZZNS4_16geometric_kernelIS7_EEvRNS_18TensorIteratorBaseEdT_ENKUlvE_clEvENKUlvE_clEvEUlfE_EEvSA_T1_T2_EUlP25hiprandStatePhilox4_32_10E0_ZNS1_27distribution_nullary_kernelIhf15HIP_vector_typeIfLj4EES7_SJ_SE_EEvSA_SG_RKT3_T4_EUlifE0_EEvlNS_15PhiloxCudaStateESF_SG_: ; @_ZN2at6native12_GLOBAL__N_143distribution_elementwise_grid_stride_kernelIfLi4EZNS0_9templates4cuda21uniform_and_transformIhfPNS_17CUDAGeneratorImplEZZZNS4_16geometric_kernelIS7_EEvRNS_18TensorIteratorBaseEdT_ENKUlvE_clEvENKUlvE_clEvEUlfE_EEvSA_T1_T2_EUlP25hiprandStatePhilox4_32_10E0_ZNS1_27distribution_nullary_kernelIhf15HIP_vector_typeIfLj4EES7_SJ_SE_EEvSA_SG_RKT3_T4_EUlifE0_EEvlNS_15PhiloxCudaStateESF_SG_
; %bb.0:
	s_clause 0x2
	s_load_b64 s[4:5], s[0:1], 0x10
	s_load_b128 s[16:19], s[0:1], 0x0
	s_load_b32 s2, s[0:1], 0x20
	s_waitcnt lgkmcnt(0)
	v_dual_mov_b32 v2, s4 :: v_dual_mov_b32 v3, s5
	v_dual_mov_b32 v11, s18 :: v_dual_mov_b32 v12, s19
	s_bitcmp0_b32 s2, 0
	s_mov_b32 s2, 0
	s_cbranch_scc1 .LBB3_2
; %bb.1:
	v_dual_mov_b32 v1, s4 :: v_dual_mov_b32 v2, s5
	v_dual_mov_b32 v4, s18 :: v_dual_mov_b32 v5, s19
	s_load_b64 s[4:5], s[0:1], 0x18
	flat_load_b64 v[2:3], v[1:2]
	flat_load_b64 v[11:12], v[4:5]
	s_waitcnt vmcnt(1) lgkmcnt(0)
	v_add_co_u32 v2, vcc_lo, v2, s4
	v_add_co_ci_u32_e32 v3, vcc_lo, s5, v3, vcc_lo
.LBB3_2:
	s_clause 0x1
	s_load_b32 s3, s[0:1], 0x154
	s_load_b32 s4, s[0:1], 0x148
	s_waitcnt lgkmcnt(0)
	s_and_b32 s5, s3, 0xffff
	s_add_u32 s6, s16, -1
	s_mul_i32 s24, s4, s5
	s_addc_u32 s3, s17, -1
	s_lshl_b32 s25, s24, 2
	s_cmp_lg_u64 s[2:3], 0
	s_cbranch_scc0 .LBB3_79
; %bb.3:
	v_cvt_f32_ubyte0_e32 v1, 0
	v_cvt_f32_u32_e32 v4, s25
	s_sub_u32 s8, 0, s25
	s_subb_u32 s9, 0, 0
	s_delay_alu instid0(VALU_DEP_1) | instskip(NEXT) | instid1(VALU_DEP_1)
	v_fmamk_f32 v1, v1, 0x4f800000, v4
	v_rcp_f32_e32 v1, v1
	s_waitcnt_depctr 0xfff
	v_mul_f32_e32 v1, 0x5f7ffffc, v1
	s_delay_alu instid0(VALU_DEP_1) | instskip(NEXT) | instid1(VALU_DEP_1)
	v_mul_f32_e32 v4, 0x2f800000, v1
	v_trunc_f32_e32 v4, v4
	s_delay_alu instid0(VALU_DEP_1) | instskip(SKIP_1) | instid1(VALU_DEP_2)
	v_fmamk_f32 v1, v4, 0xcf800000, v1
	v_cvt_u32_f32_e32 v4, v4
	v_cvt_u32_f32_e32 v1, v1
	s_delay_alu instid0(VALU_DEP_2) | instskip(NEXT) | instid1(VALU_DEP_2)
	v_readfirstlane_b32 s2, v4
	v_readfirstlane_b32 s7, v1
	s_delay_alu instid0(VALU_DEP_2) | instskip(NEXT) | instid1(VALU_DEP_1)
	s_mul_i32 s10, s8, s2
	s_mul_hi_u32 s12, s8, s7
	s_mul_i32 s11, s9, s7
	s_add_i32 s10, s12, s10
	s_mul_i32 s13, s8, s7
	s_add_i32 s10, s10, s11
	s_mul_hi_u32 s12, s7, s13
	s_mul_hi_u32 s14, s2, s13
	s_mul_i32 s11, s2, s13
	s_mul_hi_u32 s13, s7, s10
	s_mul_i32 s7, s7, s10
	s_mul_hi_u32 s18, s2, s10
	s_add_u32 s7, s12, s7
	s_addc_u32 s12, 0, s13
	s_add_u32 s7, s7, s11
	s_mul_i32 s10, s2, s10
	s_addc_u32 s7, s12, s14
	s_addc_u32 s11, s18, 0
	s_add_u32 s7, s7, s10
	s_addc_u32 s10, 0, s11
	v_add_co_u32 v1, s7, v1, s7
	s_delay_alu instid0(VALU_DEP_1) | instskip(SKIP_1) | instid1(VALU_DEP_1)
	s_cmp_lg_u32 s7, 0
	s_addc_u32 s2, s2, s10
	v_readfirstlane_b32 s7, v1
	s_mul_i32 s10, s8, s2
	s_delay_alu instid0(VALU_DEP_1)
	s_mul_hi_u32 s11, s8, s7
	s_mul_i32 s9, s9, s7
	s_add_i32 s10, s11, s10
	s_mul_i32 s8, s8, s7
	s_add_i32 s10, s10, s9
	s_mul_hi_u32 s11, s2, s8
	s_mul_i32 s12, s2, s8
	s_mul_hi_u32 s8, s7, s8
	s_mul_hi_u32 s13, s7, s10
	s_mul_i32 s7, s7, s10
	s_mul_hi_u32 s9, s2, s10
	s_add_u32 s7, s8, s7
	s_addc_u32 s8, 0, s13
	s_add_u32 s7, s7, s12
	s_mul_i32 s10, s2, s10
	s_addc_u32 s7, s8, s11
	s_addc_u32 s8, s9, 0
	s_add_u32 s7, s7, s10
	s_addc_u32 s8, 0, s8
	v_add_co_u32 v1, s7, v1, s7
	s_delay_alu instid0(VALU_DEP_1) | instskip(SKIP_2) | instid1(VALU_DEP_1)
	s_cmp_lg_u32 s7, 0
	s_addc_u32 s7, s2, s8
	s_ashr_i32 s8, s3, 31
	v_readfirstlane_b32 s10, v1
	s_add_u32 s2, s6, s8
	s_mov_b32 s9, s8
	s_addc_u32 s3, s3, s8
	s_delay_alu instid0(SALU_CYCLE_1) | instskip(NEXT) | instid1(SALU_CYCLE_1)
	s_xor_b64 s[2:3], s[2:3], s[8:9]
	s_mul_i32 s12, s2, s7
	s_mul_hi_u32 s13, s2, s10
	s_mul_hi_u32 s11, s2, s7
	;; [unrolled: 1-line block ×3, first 2 shown]
	s_mul_i32 s10, s3, s10
	s_add_u32 s12, s13, s12
	s_addc_u32 s11, 0, s11
	s_mul_hi_u32 s14, s3, s7
	s_add_u32 s10, s12, s10
	s_mul_i32 s7, s3, s7
	s_addc_u32 s10, s11, s18
	s_addc_u32 s11, s14, 0
	s_add_u32 s7, s10, s7
	s_addc_u32 s10, 0, s11
	s_mul_i32 s12, s25, s7
	s_add_u32 s11, s7, 1
	v_sub_co_u32 v1, s2, s2, s12
	s_mul_hi_u32 s12, s25, s7
	s_addc_u32 s13, s10, 0
	s_mul_i32 s14, s25, s10
	s_delay_alu instid0(VALU_DEP_1)
	v_sub_co_u32 v4, s18, v1, s25
	s_add_u32 s19, s7, 2
	s_addc_u32 s20, s10, 0
	s_add_i32 s12, s12, s14
	s_cmp_lg_u32 s2, 0
	v_readfirstlane_b32 s2, v4
	s_subb_u32 s3, s3, s12
	s_cmp_lg_u32 s18, 0
	s_subb_u32 s12, s3, 0
	s_delay_alu instid0(VALU_DEP_1) | instskip(SKIP_4) | instid1(SALU_CYCLE_1)
	s_cmp_ge_u32 s2, s25
	s_cselect_b32 s2, -1, 0
	s_cmp_eq_u32 s12, 0
	v_readfirstlane_b32 s12, v1
	s_cselect_b32 s2, s2, -1
	s_cmp_lg_u32 s2, 0
	s_cselect_b32 s2, s19, s11
	s_cselect_b32 s11, s20, s13
	s_cmp_ge_u32 s12, s25
	s_cselect_b32 s12, -1, 0
	s_cmp_eq_u32 s3, 0
	s_cselect_b32 s3, s12, -1
	s_delay_alu instid0(SALU_CYCLE_1) | instskip(SKIP_2) | instid1(SALU_CYCLE_1)
	s_cmp_lg_u32 s3, 0
	s_cselect_b32 s3, s11, s10
	s_cselect_b32 s2, s2, s7
	s_xor_b64 s[2:3], s[2:3], s[8:9]
	s_delay_alu instid0(SALU_CYCLE_1)
	s_sub_u32 s2, s2, s8
	s_subb_u32 s3, s3, s8
	s_cbranch_execnz .LBB3_5
.LBB3_4:
	v_cvt_f32_u32_e32 v1, s25
	s_sub_i32 s3, 0, s25
	s_delay_alu instid0(VALU_DEP_1) | instskip(SKIP_2) | instid1(VALU_DEP_1)
	v_rcp_iflag_f32_e32 v1, v1
	s_waitcnt_depctr 0xfff
	v_mul_f32_e32 v1, 0x4f7ffffe, v1
	v_cvt_u32_f32_e32 v1, v1
	s_delay_alu instid0(VALU_DEP_1) | instskip(NEXT) | instid1(VALU_DEP_1)
	v_readfirstlane_b32 s2, v1
	s_mul_i32 s3, s3, s2
	s_delay_alu instid0(SALU_CYCLE_1) | instskip(NEXT) | instid1(SALU_CYCLE_1)
	s_mul_hi_u32 s3, s2, s3
	s_add_i32 s2, s2, s3
	s_delay_alu instid0(SALU_CYCLE_1) | instskip(NEXT) | instid1(SALU_CYCLE_1)
	s_mul_hi_u32 s2, s6, s2
	s_mul_i32 s3, s2, s25
	s_delay_alu instid0(SALU_CYCLE_1)
	s_sub_i32 s3, s6, s3
	s_add_i32 s6, s2, 1
	s_sub_i32 s7, s3, s25
	s_cmp_ge_u32 s3, s25
	s_cselect_b32 s2, s6, s2
	s_cselect_b32 s3, s7, s3
	s_add_i32 s6, s2, 1
	s_cmp_ge_u32 s3, s25
	s_mov_b32 s3, 0
	s_cselect_b32 s2, s6, s2
.LBB3_5:
	v_mov_b32_e32 v1, 0
	s_add_u32 s2, s2, 1
	s_addc_u32 s3, s3, 0
	s_mul_hi_u32 s6, s24, s2
	s_mul_i32 s3, s24, s3
	v_mad_u64_u32 v[13:14], null, s5, s15, v[0:1]
	s_mul_hi_u32 s4, s4, s5
	s_add_i32 s3, s6, s3
	s_mul_i32 s4, s4, s2
	s_mul_i32 s2, s24, s2
	s_add_i32 s3, s3, s4
	s_mov_b32 s4, exec_lo
	s_lshl_b64 s[2:3], s[2:3], 2
	s_delay_alu instid0(SALU_CYCLE_1)
	v_cmpx_gt_i64_e64 s[2:3], v[13:14]
	s_cbranch_execz .LBB3_78
; %bb.6:
	s_load_b128 s[12:15], s[0:1], 0x138
	v_alignbit_b32 v24, v3, v2, 2
	s_waitcnt vmcnt(0)
	v_dual_mov_b32 v38, v12 :: v_dual_add_nc_u32 v19, 0x96a522ad, v12
	v_add_co_u32 v23, null, 0x9e3779b9, v11
	s_load_b256 s[4:11], s[0:1], 0x30
	s_waitcnt lgkmcnt(0)
	s_mov_b32 s11, 0x3e9b6dac
	v_add_co_u32 v26, null, 0x3c6ef372, v11
	v_add_co_u32 v32, null, 0x76cf5d0a, v38
	;; [unrolled: 1-line block ×6, first 2 shown]
	v_cvt_f32_f64_e32 v9, s[14:15]
	v_add_co_u32 v28, null, 0xb54cda56, v11
	v_add_co_u32 v33, null, 0xdb3d7428, v38
	;; [unrolled: 1-line block ×3, first 2 shown]
	s_add_u32 s18, s0, 48
	v_add_co_u32 v30, null, 0xf1bbcdc8, v11
	s_addc_u32 s19, s1, 0
	s_add_i32 s20, s4, -1
	s_load_b64 s[14:15], s[0:1], 0xf4
	s_cmp_gt_u32 s20, 1
	s_mov_b32 s26, 0
	s_mul_i32 s33, s24, 3
	v_add_nc_u32_e32 v18, 0x8ff34781, v11
	v_sub_f32_e32 v4, 1.0, v9
	s_delay_alu instid0(VALU_DEP_1) | instskip(NEXT) | instid1(VALU_DEP_1)
	v_cvt_f64_f32_e32 v[0:1], v4
	v_frexp_exp_i32_f64_e32 v0, v[0:1]
	v_frexp_mant_f32_e32 v1, v4
	s_delay_alu instid0(VALU_DEP_1) | instskip(NEXT) | instid1(VALU_DEP_3)
	v_cmp_gt_f32_e32 vcc_lo, 0x3f2aaaab, v1
	v_subrev_co_ci_u32_e32 v8, vcc_lo, 0, v0, vcc_lo
	v_add_f32_e32 v0, -1.0, v4
	v_cmp_eq_f32_e32 vcc_lo, 0xff800000, v9
	s_delay_alu instid0(VALU_DEP_3) | instskip(SKIP_1) | instid1(VALU_DEP_4)
	v_sub_nc_u32_e32 v1, 0, v8
	v_cvt_f32_i32_e32 v8, v8
	v_sub_f32_e32 v5, v0, v4
	s_delay_alu instid0(VALU_DEP_3) | instskip(NEXT) | instid1(VALU_DEP_2)
	v_ldexp_f32 v4, v4, v1
	v_add_f32_e32 v5, 1.0, v5
	v_sub_f32_e64 v0, -v9, v0
	s_delay_alu instid0(VALU_DEP_3) | instskip(NEXT) | instid1(VALU_DEP_1)
	v_add_f32_e32 v6, 1.0, v4
	v_dual_add_f32 v0, v0, v5 :: v_dual_add_f32 v5, -1.0, v6
	s_delay_alu instid0(VALU_DEP_1) | instskip(SKIP_1) | instid1(VALU_DEP_3)
	v_ldexp_f32 v0, v0, v1
	v_add_f32_e32 v1, -1.0, v4
	v_sub_f32_e32 v5, v4, v5
	s_delay_alu instid0(VALU_DEP_2) | instskip(NEXT) | instid1(VALU_DEP_2)
	v_add_f32_e32 v7, 1.0, v1
	v_add_f32_e32 v5, v0, v5
	s_delay_alu instid0(VALU_DEP_2) | instskip(NEXT) | instid1(VALU_DEP_1)
	v_sub_f32_e32 v4, v4, v7
	v_add_f32_e32 v0, v0, v4
	s_delay_alu instid0(VALU_DEP_1) | instskip(NEXT) | instid1(VALU_DEP_1)
	v_dual_add_f32 v4, v1, v0 :: v_dual_add_f32 v7, v6, v5
	v_sub_f32_e32 v1, v4, v1
	s_delay_alu instid0(VALU_DEP_2) | instskip(SKIP_1) | instid1(VALU_DEP_1)
	v_rcp_f32_e32 v10, v7
	v_sub_f32_e32 v6, v7, v6
	v_dual_sub_f32 v0, v0, v1 :: v_dual_sub_f32 v5, v5, v6
	s_waitcnt_depctr 0xfff
	v_mul_f32_e32 v15, v4, v10
	s_delay_alu instid0(VALU_DEP_1) | instskip(NEXT) | instid1(VALU_DEP_1)
	v_mul_f32_e32 v16, v7, v15
	v_fma_f32 v6, v15, v7, -v16
	s_delay_alu instid0(VALU_DEP_1) | instskip(NEXT) | instid1(VALU_DEP_1)
	v_fmac_f32_e32 v6, v15, v5
	v_add_f32_e32 v17, v16, v6
	s_delay_alu instid0(VALU_DEP_1) | instskip(NEXT) | instid1(VALU_DEP_1)
	v_sub_f32_e32 v25, v4, v17
	v_dual_sub_f32 v1, v17, v16 :: v_dual_sub_f32 v4, v4, v25
	s_delay_alu instid0(VALU_DEP_1) | instskip(NEXT) | instid1(VALU_DEP_1)
	v_dual_sub_f32 v1, v1, v6 :: v_dual_sub_f32 v4, v4, v17
	v_dual_add_f32 v0, v0, v4 :: v_dual_and_b32 v17, 3, v2
	s_delay_alu instid0(VALU_DEP_1) | instskip(SKIP_1) | instid1(VALU_DEP_2)
	v_add_f32_e32 v4, v1, v0
	v_mad_u64_u32 v[0:1], null, 0xcd9e8d57, v13, 0
	v_add_f32_e32 v6, v25, v4
	s_delay_alu instid0(VALU_DEP_1) | instskip(SKIP_2) | instid1(VALU_DEP_3)
	v_mul_f32_e32 v16, v10, v6
	v_sub_f32_e32 v2, v25, v6
	v_lshrrev_b32_e32 v25, 2, v3
	v_mul_f32_e32 v27, v7, v16
	v_add_f32_e32 v36, v15, v16
	s_delay_alu instid0(VALU_DEP_3) | instskip(SKIP_1) | instid1(VALU_DEP_4)
	v_xor3_b32 v1, v11, v1, v25
	v_add_f32_e32 v4, v4, v2
	v_fma_f32 v7, v16, v7, -v27
	s_delay_alu instid0(VALU_DEP_1) | instskip(NEXT) | instid1(VALU_DEP_1)
	v_fmac_f32_e32 v7, v16, v5
	v_add_f32_e32 v5, v27, v7
	s_delay_alu instid0(VALU_DEP_1) | instskip(NEXT) | instid1(VALU_DEP_1)
	v_sub_f32_e32 v29, v6, v5
	v_dual_sub_f32 v3, v6, v29 :: v_dual_sub_f32 v6, v5, v27
	v_add_co_u32 v27, null, 0x78dde6e4, v11
	s_delay_alu instid0(VALU_DEP_2) | instskip(SKIP_2) | instid1(VALU_DEP_3)
	v_dual_sub_f32 v5, v3, v5 :: v_dual_sub_f32 v6, v6, v7
	v_mad_u64_u32 v[2:3], null, 0xd2511f53, v24, 0
	v_sub_f32_e32 v7, v36, v15
	v_add_f32_e32 v4, v4, v5
	s_delay_alu instid0(VALU_DEP_3) | instskip(NEXT) | instid1(VALU_DEP_2)
	v_xor_b32_e32 v5, v3, v12
	v_add_f32_e32 v6, v6, v4
	v_mad_u64_u32 v[3:4], null, 0xd2511f53, v1, 0
	s_delay_alu instid0(VALU_DEP_3) | instskip(NEXT) | instid1(VALU_DEP_3)
	v_xor_b32_e32 v1, v5, v14
	v_add_f32_e32 v15, v29, v6
	v_add_co_u32 v29, null, 0xbb67ae85, v38
	s_delay_alu instid0(VALU_DEP_3) | instskip(SKIP_1) | instid1(VALU_DEP_4)
	v_mad_u64_u32 v[5:6], null, 0xcd9e8d57, v1, 0
	v_sub_f32_e32 v1, v16, v7
	v_mul_f32_e32 v7, v10, v15
	s_delay_alu instid0(VALU_DEP_4) | instskip(NEXT) | instid1(VALU_DEP_4)
	v_xor3_b32 v4, v29, v4, v2
	v_xor3_b32 v0, v23, v6, v0
	s_delay_alu instid0(VALU_DEP_3) | instskip(NEXT) | instid1(VALU_DEP_3)
	v_add_f32_e32 v10, v1, v7
	v_mad_u64_u32 v[1:2], null, 0xcd9e8d57, v4, 0
	s_delay_alu instid0(VALU_DEP_3) | instskip(NEXT) | instid1(VALU_DEP_3)
	v_mad_u64_u32 v[6:7], null, 0xd2511f53, v0, 0
	v_add_f32_e32 v15, v36, v10
	v_mov_b32_e32 v31, v13
	s_delay_alu instid0(VALU_DEP_4) | instskip(NEXT) | instid1(VALU_DEP_3)
	v_xor3_b32 v2, v26, v2, v5
	v_mul_f32_e32 v0, v15, v15
	v_xor3_b32 v7, v32, v7, v3
	s_delay_alu instid0(VALU_DEP_3) | instskip(NEXT) | instid1(VALU_DEP_3)
	v_mad_u64_u32 v[4:5], null, 0xd2511f53, v2, 0
	v_fmaak_f32 v16, s11, v0, 0x3ecc95a3
	s_delay_alu instid0(VALU_DEP_3) | instskip(SKIP_2) | instid1(VALU_DEP_3)
	v_mad_u64_u32 v[2:3], null, 0xcd9e8d57, v7, 0
	v_mul_f32_e32 v35, v15, v0
	s_cselect_b32 s11, -1, 0
	v_fmaak_f32 v0, v0, v16, 0x3f2aaada
	s_cmp_lg_u32 s4, 0
	s_cselect_b32 s27, -1, 0
	s_delay_alu instid0(VALU_DEP_3) | instskip(NEXT) | instid1(VALU_DEP_2)
	v_xor3_b32 v3, v22, v3, v1
	v_mul_f32_e32 v16, v35, v0
	v_xor3_b32 v0, v34, v5, v6
	v_mul_f32_e32 v40, 0x3f317218, v8
	v_ldexp_f32 v7, v15, 1
	v_add_co_u32 v35, null, 0x646e171e, v38
	s_delay_alu instid0(VALU_DEP_4)
	v_mad_u64_u32 v[5:6], null, 0xcd9e8d57, v0, 0
	v_mad_u64_u32 v[0:1], null, 0xd2511f53, v3, 0
	v_fma_f32 v3, 0x3f317218, v8, -v40
	v_sub_f32_e32 v15, v15, v36
	v_add_co_u32 v36, null, 0xed9eba14, v38
	v_xor3_b32 v6, v27, v6, v2
	s_delay_alu instid0(VALU_DEP_4) | instskip(NEXT) | instid1(VALU_DEP_4)
	v_dual_fmamk_f32 v8, v8, 0xb102e308, v3 :: v_dual_add_f32 v39, v7, v16
	v_sub_f32_e32 v10, v10, v15
	s_delay_alu instid0(VALU_DEP_4) | instskip(NEXT) | instid1(VALU_DEP_4)
	v_xor3_b32 v1, v36, v1, v4
	v_mad_u64_u32 v[2:3], null, 0xd2511f53, v6, 0
	s_delay_alu instid0(VALU_DEP_4) | instskip(NEXT) | instid1(VALU_DEP_4)
	v_sub_f32_e32 v7, v39, v7
	v_ldexp_f32 v10, v10, 1
	v_add_co_u32 v38, null, 0x1fd5c5a3, v38
	s_add_u32 s0, s0, 0xf4
	s_delay_alu instid0(VALU_DEP_3)
	v_sub_f32_e32 v7, v16, v7
	v_add_f32_e32 v15, v40, v8
	v_xor3_b32 v3, v37, v3, v0
	s_addc_u32 s1, s1, 0
	s_min_u32 s21, s20, 15
	v_add_f32_e32 v10, v10, v7
	v_mad_u64_u32 v[6:7], null, 0xcd9e8d57, v1, 0
	v_mad_u64_u32 v[0:1], null, 0xcd9e8d57, v3, 0
	s_cmp_gt_u32 s4, 1
	s_cselect_b32 s4, -1, 0
	s_add_i32 s21, s21, 1
	s_delay_alu instid0(VALU_DEP_2) | instskip(SKIP_2) | instid1(VALU_DEP_4)
	v_xor3_b32 v5, v21, v7, v5
	v_sub_f32_e32 v7, v15, v40
	v_add_f32_e32 v16, v39, v10
	v_xor3_b32 v6, v28, v1, v6
	s_lshl_b32 s28, s24, 1
	v_mad_u64_u32 v[3:4], null, 0xd2511f53, v5, 0
	v_sub_f32_e32 v7, v8, v7
	v_sub_f32_e32 v39, v16, v39
	v_add_f32_e32 v41, v15, v16
	s_and_b32 s29, s21, 3
	s_cmp_lg_u32 s20, 2
	v_cmp_gt_f32_e64 s20, 0x33800000, |v9|
	v_sub_f32_e32 v8, v10, v39
	v_sub_f32_e32 v42, v41, v15
	s_cselect_b32 s30, -1, 0
	s_and_b32 s31, s21, 28
	s_cmp_lg_u32 s29, 0
	s_delay_alu instid0(VALU_DEP_1) | instskip(SKIP_1) | instid1(VALU_DEP_1)
	v_sub_f32_e32 v40, v41, v42
	s_cselect_b32 s34, -1, 0
	v_sub_f32_e32 v10, v15, v40
	v_add_f32_e32 v15, v7, v8
	v_dual_sub_f32 v5, v16, v42 :: v_dual_mov_b32 v40, v14
	s_delay_alu instid0(VALU_DEP_1) | instskip(SKIP_2) | instid1(VALU_DEP_3)
	v_dual_sub_f32 v16, v15, v7 :: v_dual_add_f32 v5, v5, v10
	v_xor3_b32 v10, v35, v4, v2
	v_mad_u64_u32 v[1:2], null, 0xd2511f53, v6, 0
	v_sub_f32_e32 v6, v15, v16
	s_delay_alu instid0(VALU_DEP_4) | instskip(NEXT) | instid1(VALU_DEP_4)
	v_dual_add_f32 v39, v15, v5 :: v_dual_sub_f32 v8, v8, v16
	v_mad_u64_u32 v[4:5], null, 0xcd9e8d57, v10, 0
	s_delay_alu instid0(VALU_DEP_3) | instskip(NEXT) | instid1(VALU_DEP_3)
	v_sub_f32_e32 v6, v7, v6
	v_add_f32_e32 v10, v41, v39
	v_xor3_b32 v2, v38, v2, v3
	s_delay_alu instid0(VALU_DEP_3) | instskip(NEXT) | instid1(VALU_DEP_3)
	v_add_f32_e32 v3, v8, v6
	v_sub_f32_e32 v7, v10, v41
	v_xor3_b32 v0, v20, v5, v0
	s_delay_alu instid0(VALU_DEP_4) | instskip(NEXT) | instid1(VALU_DEP_3)
	v_mad_u64_u32 v[5:6], null, 0xcd9e8d57, v2, 0
	v_sub_f32_e32 v15, v39, v7
	s_delay_alu instid0(VALU_DEP_3) | instskip(NEXT) | instid1(VALU_DEP_2)
	v_mad_u64_u32 v[7:8], null, 0xd2511f53, v0, 0
	v_add_f32_e32 v0, v3, v15
	s_delay_alu instid0(VALU_DEP_4) | instskip(NEXT) | instid1(VALU_DEP_3)
	v_xor3_b32 v2, v30, v6, v4
	v_xor3_b32 v6, v33, v8, v1
	s_delay_alu instid0(VALU_DEP_3) | instskip(NEXT) | instid1(VALU_DEP_3)
	v_add_f32_e32 v0, v10, v0
	v_mad_u64_u32 v[3:4], null, 0xd2511f53, v2, 0
	s_delay_alu instid0(VALU_DEP_3) | instskip(NEXT) | instid1(VALU_DEP_3)
	v_mad_u64_u32 v[1:2], null, 0xcd9e8d57, v6, 0
	v_cndmask_b32_e64 v0, v0, -v9, vcc_lo
	v_cmp_nlt_f32_e32 vcc_lo, 1.0, v9
	s_delay_alu instid0(VALU_DEP_2) | instskip(SKIP_1) | instid1(VALU_DEP_2)
	v_cndmask_b32_e32 v0, 0x7fc00000, v0, vcc_lo
	v_cmp_neq_f32_e32 vcc_lo, 1.0, v9
	v_cndmask_b32_e32 v6, 0xff800000, v0, vcc_lo
	v_xor3_b32 v0, v2, v5, v18
	v_xor3_b32 v2, v4, v7, v19
	s_delay_alu instid0(VALU_DEP_3)
	v_cndmask_b32_e64 v39, v6, -v9, s20
	s_branch .LBB3_9
.LBB3_7:                                ;   in Loop: Header=BB3_9 Depth=1
	v_cvt_f32_u32_e32 v0, v3
	s_delay_alu instid0(VALU_DEP_1) | instskip(NEXT) | instid1(VALU_DEP_1)
	v_fmaak_f32 v0, 0x2f800000, v0, 0x2f800000
	v_cmp_gt_f32_e32 vcc_lo, 0x800000, v0
	v_cndmask_b32_e64 v2, 1.0, 0x4f800000, vcc_lo
	s_delay_alu instid0(VALU_DEP_1) | instskip(NEXT) | instid1(VALU_DEP_1)
	v_mul_f32_e32 v0, v0, v2
	v_log_f32_e32 v0, v0
	s_waitcnt_depctr 0xfff
	v_mul_f32_e32 v2, 0x3f317217, v0
	s_delay_alu instid0(VALU_DEP_1) | instskip(NEXT) | instid1(VALU_DEP_1)
	v_fma_f32 v3, 0x3f317217, v0, -v2
	v_fmac_f32_e32 v3, 0x3377d1cf, v0
	s_delay_alu instid0(VALU_DEP_1) | instskip(SKIP_2) | instid1(VALU_DEP_3)
	v_add_f32_e32 v2, v2, v3
	v_cndmask_b32_e64 v3, 0, 0x41b17218, vcc_lo
	v_cmp_gt_f32_e64 vcc_lo, 0x7f800000, |v0|
	v_cndmask_b32_e32 v0, v0, v2, vcc_lo
	s_delay_alu instid0(VALU_DEP_1) | instskip(NEXT) | instid1(VALU_DEP_1)
	v_sub_f32_e32 v0, v0, v3
	v_div_scale_f32 v2, null, v39, v39, v0
	s_delay_alu instid0(VALU_DEP_1) | instskip(SKIP_2) | instid1(VALU_DEP_1)
	v_rcp_f32_e32 v3, v2
	s_waitcnt_depctr 0xfff
	v_fma_f32 v7, -v2, v3, 1.0
	v_fmac_f32_e32 v3, v7, v3
	v_div_scale_f32 v7, vcc_lo, v0, v39, v0
	s_delay_alu instid0(VALU_DEP_1) | instskip(NEXT) | instid1(VALU_DEP_1)
	v_mul_f32_e32 v8, v7, v3
	v_fma_f32 v9, -v2, v8, v7
	s_delay_alu instid0(VALU_DEP_1) | instskip(NEXT) | instid1(VALU_DEP_1)
	v_fmac_f32_e32 v8, v9, v3
	v_fma_f32 v2, -v2, v8, v7
	s_delay_alu instid0(VALU_DEP_1) | instskip(NEXT) | instid1(VALU_DEP_1)
	v_div_fmas_f32 v2, v2, v3, v8
	v_div_fixup_f32 v0, v2, v39, v0
	s_delay_alu instid0(VALU_DEP_1) | instskip(NEXT) | instid1(VALU_DEP_1)
	v_ceil_f32_e32 v0, v0
	v_cvt_i32_f32_e32 v0, v0
	global_store_b8 v1, v0, s[12:13]
.LBB3_8:                                ;   in Loop: Header=BB3_9 Depth=1
	s_or_b32 exec_lo, exec_lo, s35
	v_add_co_u32 v13, vcc_lo, v13, s25
	v_add_co_ci_u32_e32 v14, vcc_lo, 0, v14, vcc_lo
	v_mov_b32_e32 v7, v15
	v_dual_mov_b32 v0, v4 :: v_dual_mov_b32 v1, v5
	s_delay_alu instid0(VALU_DEP_3) | instskip(NEXT) | instid1(VALU_DEP_3)
	v_cmp_le_i64_e32 vcc_lo, s[2:3], v[13:14]
	v_dual_mov_b32 v2, v6 :: v_dual_mov_b32 v3, v7
	s_waitcnt lgkmcnt(0)
	s_waitcnt_vscnt null, 0x0
	s_barrier
	buffer_gl0_inv
	s_or_b32 s26, vcc_lo, s26
	s_delay_alu instid0(SALU_CYCLE_1)
	s_and_not1_b32 exec_lo, exec_lo, s26
	s_cbranch_execz .LBB3_78
.LBB3_9:                                ; =>This Loop Header: Depth=1
                                        ;     Child Loop BB3_24 Depth 2
                                        ;     Child Loop BB3_29 Depth 2
	;; [unrolled: 1-line block ×8, first 2 shown]
	v_add_co_u32 v24, vcc_lo, v24, 1
	s_delay_alu instid0(VALU_DEP_1) | instskip(SKIP_2) | instid1(VALU_DEP_1)
	v_cndmask_b32_e64 v4, 0, 1, vcc_lo
	v_add_co_ci_u32_e32 v25, vcc_lo, 0, v25, vcc_lo
	s_mov_b32 s20, exec_lo
	v_cmp_eq_u32_e32 vcc_lo, 0, v25
	s_delay_alu instid0(VALU_DEP_3) | instskip(NEXT) | instid1(VALU_DEP_1)
	v_cndmask_b32_e32 v4, 0, v4, vcc_lo
	v_add_nc_u32_e32 v31, v4, v31
	s_delay_alu instid0(VALU_DEP_1) | instskip(SKIP_2) | instid1(VALU_DEP_2)
	v_cmp_eq_u32_e32 vcc_lo, 0, v31
	v_cndmask_b32_e32 v4, 0, v4, vcc_lo
	v_mad_u64_u32 v[6:7], null, 0xcd9e8d57, v31, 0
	v_add_nc_u32_e32 v40, v4, v40
	v_mad_u64_u32 v[4:5], null, 0xd2511f53, v24, 0
	s_delay_alu instid0(VALU_DEP_3) | instskip(NEXT) | instid1(VALU_DEP_2)
	v_xor3_b32 v9, v7, v11, v25
	v_xor_b32_e32 v5, v5, v12
	s_delay_alu instid0(VALU_DEP_2) | instskip(NEXT) | instid1(VALU_DEP_2)
	v_mad_u64_u32 v[7:8], null, 0xd2511f53, v9, 0
	v_xor_b32_e32 v5, v40, v5
	s_delay_alu instid0(VALU_DEP_2) | instskip(NEXT) | instid1(VALU_DEP_2)
	v_xor3_b32 v8, v29, v8, v4
	v_mad_u64_u32 v[9:10], null, 0xcd9e8d57, v5, 0
	s_delay_alu instid0(VALU_DEP_2) | instskip(NEXT) | instid1(VALU_DEP_2)
	v_mad_u64_u32 v[4:5], null, 0xcd9e8d57, v8, 0
	v_xor3_b32 v6, v23, v10, v6
	s_delay_alu instid0(VALU_DEP_2) | instskip(NEXT) | instid1(VALU_DEP_2)
	v_xor3_b32 v8, v26, v5, v9
	v_mad_u64_u32 v[15:16], null, 0xd2511f53, v6, 0
	s_delay_alu instid0(VALU_DEP_2) | instskip(NEXT) | instid1(VALU_DEP_2)
	v_mad_u64_u32 v[5:6], null, 0xd2511f53, v8, 0
	v_xor3_b32 v9, v32, v16, v7
	s_delay_alu instid0(VALU_DEP_2) | instskip(NEXT) | instid1(VALU_DEP_2)
	v_xor3_b32 v6, v34, v6, v15
	v_mad_u64_u32 v[7:8], null, 0xcd9e8d57, v9, 0
	s_delay_alu instid0(VALU_DEP_1) | instskip(NEXT) | instid1(VALU_DEP_3)
	v_xor3_b32 v4, v22, v8, v4
	v_mad_u64_u32 v[8:9], null, 0xcd9e8d57, v6, 0
	s_delay_alu instid0(VALU_DEP_2) | instskip(NEXT) | instid1(VALU_DEP_2)
	v_mad_u64_u32 v[15:16], null, 0xd2511f53, v4, 0
	v_xor3_b32 v6, v27, v9, v7
	s_delay_alu instid0(VALU_DEP_2) | instskip(NEXT) | instid1(VALU_DEP_2)
	v_xor3_b32 v9, v36, v16, v5
	v_mad_u64_u32 v[4:5], null, 0xd2511f53, v6, 0
	s_delay_alu instid0(VALU_DEP_2) | instskip(NEXT) | instid1(VALU_DEP_2)
	v_mad_u64_u32 v[6:7], null, 0xcd9e8d57, v9, 0
	v_xor3_b32 v5, v37, v5, v15
	s_delay_alu instid0(VALU_DEP_2) | instskip(NEXT) | instid1(VALU_DEP_2)
	;; [unrolled: 6-line block ×6, first 2 shown]
	v_xor3_b32 v4, v6, v7, v18
	v_mov_b32_e32 v6, v10
	v_cmpx_lt_i32_e32 1, v17
	s_xor_b32 s20, exec_lo, s20
	s_cbranch_execnz .LBB3_12
; %bb.10:                               ;   in Loop: Header=BB3_9 Depth=1
	s_and_not1_saveexec_b32 s20, s20
	s_cbranch_execnz .LBB3_17
.LBB3_11:                               ;   in Loop: Header=BB3_9 Depth=1
	s_or_b32 exec_lo, exec_lo, s20
	s_delay_alu instid0(SALU_CYCLE_1)
	s_mov_b32 s35, exec_lo
	v_cmpx_gt_i64_e64 s[16:17], v[13:14]
	s_cbranch_execnz .LBB3_20
	s_branch .LBB3_34
.LBB3_12:                               ;   in Loop: Header=BB3_9 Depth=1
	s_mov_b32 s21, exec_lo
	v_cmpx_lt_i32_e32 2, v17
	s_xor_b32 s21, exec_lo, s21
; %bb.13:                               ;   in Loop: Header=BB3_9 Depth=1
	v_dual_mov_b32 v7, v3 :: v_dual_mov_b32 v8, v4
	v_mov_b32_e32 v9, v5
	s_delay_alu instid0(VALU_DEP_2) | instskip(NEXT) | instid1(VALU_DEP_2)
	v_dual_mov_b32 v0, v7 :: v_dual_mov_b32 v1, v8
	v_dual_mov_b32 v2, v9 :: v_dual_mov_b32 v3, v10
; %bb.14:                               ;   in Loop: Header=BB3_9 Depth=1
	s_and_not1_saveexec_b32 s21, s21
; %bb.15:                               ;   in Loop: Header=BB3_9 Depth=1
	s_delay_alu instid0(VALU_DEP_1)
	v_dual_mov_b32 v0, v2 :: v_dual_mov_b32 v1, v3
	v_dual_mov_b32 v2, v4 :: v_dual_mov_b32 v3, v5
; %bb.16:                               ;   in Loop: Header=BB3_9 Depth=1
	s_or_b32 exec_lo, exec_lo, s21
	s_and_not1_saveexec_b32 s20, s20
	s_cbranch_execz .LBB3_11
.LBB3_17:                               ;   in Loop: Header=BB3_9 Depth=1
	s_mov_b32 s21, exec_lo
	v_cmpx_eq_u32_e32 1, v17
; %bb.18:                               ;   in Loop: Header=BB3_9 Depth=1
	v_dual_mov_b32 v0, v1 :: v_dual_mov_b32 v1, v2
	v_dual_mov_b32 v2, v3 :: v_dual_mov_b32 v3, v4
; %bb.19:                               ;   in Loop: Header=BB3_9 Depth=1
	s_or_b32 exec_lo, exec_lo, s21
	s_delay_alu instid0(SALU_CYCLE_1) | instskip(NEXT) | instid1(SALU_CYCLE_1)
	s_or_b32 exec_lo, exec_lo, s20
	s_mov_b32 s35, exec_lo
	v_cmpx_gt_i64_e64 s[16:17], v[13:14]
	s_cbranch_execz .LBB3_34
.LBB3_20:                               ;   in Loop: Header=BB3_9 Depth=1
	s_and_not1_b32 vcc_lo, exec_lo, s11
	s_cbranch_vccnz .LBB3_26
; %bb.21:                               ;   in Loop: Header=BB3_9 Depth=1
	v_mov_b32_e32 v7, 0
	s_and_not1_b32 vcc_lo, exec_lo, s27
	s_cbranch_vccnz .LBB3_30
; %bb.22:                               ;   in Loop: Header=BB3_9 Depth=1
	s_and_not1_b32 vcc_lo, exec_lo, s30
	s_mov_b32 s20, 0
	s_cbranch_vccnz .LBB3_27
; %bb.23:                               ;   in Loop: Header=BB3_9 Depth=1
	v_dual_mov_b32 v7, 0 :: v_dual_mov_b32 v8, v13
	s_mov_b32 s36, 0
	s_mov_b64 s[20:21], s[18:19]
	s_mov_b64 s[22:23], s[0:1]
.LBB3_24:                               ;   Parent Loop BB3_9 Depth=1
                                        ; =>  This Inner Loop Header: Depth=2
	s_clause 0x1
	s_load_b256 s[40:47], s[20:21], 0x4
	s_load_b128 s[48:51], s[20:21], 0x24
	s_load_b128 s[52:55], s[22:23], 0x0
	s_add_u32 s20, s20, 48
	s_addc_u32 s21, s21, 0
	s_add_i32 s36, s36, 4
	s_add_u32 s22, s22, 16
	s_addc_u32 s23, s23, 0
	s_cmp_lg_u32 s31, s36
	s_waitcnt lgkmcnt(0)
	v_mul_hi_u32 v9, s41, v8
	s_delay_alu instid0(VALU_DEP_1) | instskip(NEXT) | instid1(VALU_DEP_1)
	v_add_nc_u32_e32 v9, v8, v9
	v_lshrrev_b32_e32 v9, s42, v9
	s_delay_alu instid0(VALU_DEP_1) | instskip(SKIP_1) | instid1(VALU_DEP_2)
	v_mul_hi_u32 v10, s44, v9
	v_mul_lo_u32 v42, v9, s40
	v_add_nc_u32_e32 v10, v9, v10
	s_delay_alu instid0(VALU_DEP_2) | instskip(NEXT) | instid1(VALU_DEP_2)
	v_sub_nc_u32_e32 v42, v8, v42
	v_lshrrev_b32_e32 v10, s45, v10
	s_delay_alu instid0(VALU_DEP_2) | instskip(NEXT) | instid1(VALU_DEP_2)
	v_mul_lo_u32 v42, v42, s52
	v_mul_hi_u32 v16, s47, v10
	v_mul_lo_u32 v43, v10, s43
	s_delay_alu instid0(VALU_DEP_2) | instskip(NEXT) | instid1(VALU_DEP_2)
	v_add_nc_u32_e32 v16, v10, v16
	v_sub_nc_u32_e32 v9, v9, v43
	s_delay_alu instid0(VALU_DEP_2) | instskip(NEXT) | instid1(VALU_DEP_2)
	v_lshrrev_b32_e32 v16, s48, v16
	v_mul_lo_u32 v9, v9, s53
	s_delay_alu instid0(VALU_DEP_2) | instskip(NEXT) | instid1(VALU_DEP_2)
	v_mul_hi_u32 v41, s50, v16
	v_add3_u32 v7, v42, v7, v9
	s_delay_alu instid0(VALU_DEP_2) | instskip(NEXT) | instid1(VALU_DEP_1)
	v_add_nc_u32_e32 v41, v16, v41
	v_lshrrev_b32_e32 v8, s51, v41
	v_mul_lo_u32 v41, v16, s46
	s_delay_alu instid0(VALU_DEP_2) | instskip(NEXT) | instid1(VALU_DEP_2)
	v_mul_lo_u32 v44, v8, s49
	v_sub_nc_u32_e32 v10, v10, v41
	s_delay_alu instid0(VALU_DEP_2) | instskip(NEXT) | instid1(VALU_DEP_2)
	v_sub_nc_u32_e32 v16, v16, v44
	v_mul_lo_u32 v10, v10, s54
	s_delay_alu instid0(VALU_DEP_2) | instskip(NEXT) | instid1(VALU_DEP_1)
	v_mul_lo_u32 v16, v16, s55
	v_add3_u32 v7, v10, v7, v16
	s_cbranch_scc1 .LBB3_24
; %bb.25:                               ;   in Loop: Header=BB3_9 Depth=1
	s_mov_b32 s20, s31
	s_and_not1_b32 vcc_lo, exec_lo, s34
	s_cbranch_vccz .LBB3_28
	s_branch .LBB3_30
.LBB3_26:                               ;   in Loop: Header=BB3_9 Depth=1
                                        ; implicit-def: $vgpr7
	s_branch .LBB3_31
.LBB3_27:                               ;   in Loop: Header=BB3_9 Depth=1
	v_mov_b32_e32 v8, v13
	s_and_not1_b32 vcc_lo, exec_lo, s34
	s_cbranch_vccnz .LBB3_30
.LBB3_28:                               ;   in Loop: Header=BB3_9 Depth=1
	s_lshl_b32 s21, s20, 2
	s_mul_i32 s22, s20, 12
	s_add_u32 s20, s0, s21
	s_addc_u32 s21, s1, 0
	s_add_u32 s22, s18, s22
	s_addc_u32 s23, s19, 0
	s_mov_b32 s36, s29
	.p2align	6
.LBB3_29:                               ;   Parent Loop BB3_9 Depth=1
                                        ; =>  This Inner Loop Header: Depth=2
	s_clause 0x1
	s_load_b64 s[38:39], s[22:23], 0x4
	s_load_b32 s37, s[22:23], 0xc
	s_add_u32 s22, s22, 12
	s_addc_u32 s23, s23, 0
	s_waitcnt lgkmcnt(0)
	v_mul_hi_u32 v9, s39, v8
	s_load_b32 s39, s[20:21], 0x0
	s_add_u32 s20, s20, 4
	s_addc_u32 s21, s21, 0
	s_add_i32 s36, s36, -1
	s_delay_alu instid0(SALU_CYCLE_1) | instskip(NEXT) | instid1(VALU_DEP_1)
	s_cmp_lg_u32 s36, 0
	v_add_nc_u32_e32 v9, v8, v9
	s_delay_alu instid0(VALU_DEP_1) | instskip(NEXT) | instid1(VALU_DEP_1)
	v_lshrrev_b32_e32 v16, s37, v9
	v_mul_lo_u32 v9, v16, s38
	s_delay_alu instid0(VALU_DEP_1) | instskip(SKIP_1) | instid1(VALU_DEP_1)
	v_sub_nc_u32_e32 v8, v8, v9
	s_waitcnt lgkmcnt(0)
	v_mad_u64_u32 v[9:10], null, v8, s39, v[7:8]
	s_delay_alu instid0(VALU_DEP_1)
	v_dual_mov_b32 v8, v16 :: v_dual_mov_b32 v7, v9
	s_cbranch_scc1 .LBB3_29
.LBB3_30:                               ;   in Loop: Header=BB3_9 Depth=1
	s_cbranch_execnz .LBB3_33
.LBB3_31:                               ;   in Loop: Header=BB3_9 Depth=1
	v_mul_hi_u32 v7, v13, s6
	s_and_not1_b32 vcc_lo, exec_lo, s4
	s_delay_alu instid0(VALU_DEP_1) | instskip(NEXT) | instid1(VALU_DEP_1)
	v_add_nc_u32_e32 v7, v7, v13
	v_lshrrev_b32_e32 v8, s7, v7
	s_delay_alu instid0(VALU_DEP_1) | instskip(NEXT) | instid1(VALU_DEP_1)
	v_mul_lo_u32 v7, v8, s5
	v_sub_nc_u32_e32 v7, v13, v7
	s_waitcnt lgkmcnt(0)
	s_delay_alu instid0(VALU_DEP_1)
	v_mul_lo_u32 v7, v7, s14
	s_cbranch_vccnz .LBB3_33
; %bb.32:                               ;   in Loop: Header=BB3_9 Depth=1
	v_mul_hi_u32 v9, s9, v8
	s_delay_alu instid0(VALU_DEP_1) | instskip(NEXT) | instid1(VALU_DEP_1)
	v_add_nc_u32_e32 v9, v8, v9
	v_lshrrev_b32_e32 v9, s10, v9
	s_delay_alu instid0(VALU_DEP_1) | instskip(NEXT) | instid1(VALU_DEP_1)
	v_mul_lo_u32 v9, v9, s8
	v_sub_nc_u32_e32 v10, v8, v9
	s_delay_alu instid0(VALU_DEP_1) | instskip(NEXT) | instid1(VALU_DEP_1)
	v_mad_u64_u32 v[8:9], null, v10, s15, v[7:8]
	v_mov_b32_e32 v7, v8
.LBB3_33:                               ;   in Loop: Header=BB3_9 Depth=1
	v_cvt_f32_u32_e32 v0, v0
	s_delay_alu instid0(VALU_DEP_1) | instskip(NEXT) | instid1(VALU_DEP_1)
	v_fmaak_f32 v0, 0x2f800000, v0, 0x2f800000
	v_cmp_gt_f32_e32 vcc_lo, 0x800000, v0
	v_cndmask_b32_e64 v8, 1.0, 0x4f800000, vcc_lo
	s_delay_alu instid0(VALU_DEP_1) | instskip(NEXT) | instid1(VALU_DEP_1)
	v_mul_f32_e32 v0, v0, v8
	v_log_f32_e32 v0, v0
	s_waitcnt_depctr 0xfff
	v_mul_f32_e32 v8, 0x3f317217, v0
	s_delay_alu instid0(VALU_DEP_1) | instskip(NEXT) | instid1(VALU_DEP_1)
	v_fma_f32 v9, 0x3f317217, v0, -v8
	v_fmac_f32_e32 v9, 0x3377d1cf, v0
	s_delay_alu instid0(VALU_DEP_1) | instskip(SKIP_2) | instid1(VALU_DEP_3)
	v_add_f32_e32 v8, v8, v9
	v_cndmask_b32_e64 v9, 0, 0x41b17218, vcc_lo
	v_cmp_gt_f32_e64 vcc_lo, 0x7f800000, |v0|
	v_cndmask_b32_e32 v0, v0, v8, vcc_lo
	s_delay_alu instid0(VALU_DEP_1) | instskip(NEXT) | instid1(VALU_DEP_1)
	v_sub_f32_e32 v0, v0, v9
	v_div_scale_f32 v8, null, v39, v39, v0
	s_delay_alu instid0(VALU_DEP_1) | instskip(SKIP_2) | instid1(VALU_DEP_1)
	v_rcp_f32_e32 v9, v8
	s_waitcnt_depctr 0xfff
	v_fma_f32 v10, -v8, v9, 1.0
	v_fmac_f32_e32 v9, v10, v9
	v_div_scale_f32 v10, vcc_lo, v0, v39, v0
	s_delay_alu instid0(VALU_DEP_1) | instskip(NEXT) | instid1(VALU_DEP_1)
	v_mul_f32_e32 v16, v10, v9
	v_fma_f32 v41, -v8, v16, v10
	s_delay_alu instid0(VALU_DEP_1) | instskip(NEXT) | instid1(VALU_DEP_1)
	v_fmac_f32_e32 v16, v41, v9
	v_fma_f32 v8, -v8, v16, v10
	s_delay_alu instid0(VALU_DEP_1) | instskip(NEXT) | instid1(VALU_DEP_1)
	v_div_fmas_f32 v8, v8, v9, v16
	v_div_fixup_f32 v0, v8, v39, v0
	s_delay_alu instid0(VALU_DEP_1) | instskip(NEXT) | instid1(VALU_DEP_1)
	v_ceil_f32_e32 v0, v0
	v_cvt_i32_f32_e32 v0, v0
	global_store_b8 v7, v0, s[12:13]
.LBB3_34:                               ;   in Loop: Header=BB3_9 Depth=1
	s_or_b32 exec_lo, exec_lo, s35
	v_add_co_u32 v7, vcc_lo, v13, s24
	v_add_co_ci_u32_e32 v8, vcc_lo, 0, v14, vcc_lo
	s_mov_b32 s35, exec_lo
	s_delay_alu instid0(VALU_DEP_1)
	v_cmpx_gt_i64_e64 s[16:17], v[7:8]
	s_cbranch_execz .LBB3_49
; %bb.35:                               ;   in Loop: Header=BB3_9 Depth=1
	s_and_not1_b32 vcc_lo, exec_lo, s11
	s_cbranch_vccnz .LBB3_41
; %bb.36:                               ;   in Loop: Header=BB3_9 Depth=1
	v_mov_b32_e32 v0, 0
	s_and_not1_b32 vcc_lo, exec_lo, s27
	s_cbranch_vccnz .LBB3_45
; %bb.37:                               ;   in Loop: Header=BB3_9 Depth=1
	s_and_not1_b32 vcc_lo, exec_lo, s30
	s_mov_b32 s20, 0
	s_cbranch_vccnz .LBB3_42
; %bb.38:                               ;   in Loop: Header=BB3_9 Depth=1
	v_mov_b32_e32 v0, 0
	v_mov_b32_e32 v8, v7
	s_mov_b32 s36, 0
	s_mov_b64 s[20:21], s[18:19]
	s_mov_b64 s[22:23], s[0:1]
.LBB3_39:                               ;   Parent Loop BB3_9 Depth=1
                                        ; =>  This Inner Loop Header: Depth=2
	s_clause 0x1
	s_load_b256 s[40:47], s[20:21], 0x4
	s_load_b128 s[48:51], s[20:21], 0x24
	s_load_b128 s[52:55], s[22:23], 0x0
	s_add_u32 s20, s20, 48
	s_addc_u32 s21, s21, 0
	s_add_i32 s36, s36, 4
	s_add_u32 s22, s22, 16
	s_addc_u32 s23, s23, 0
	s_cmp_eq_u32 s31, s36
	s_waitcnt lgkmcnt(0)
	v_mul_hi_u32 v9, s41, v8
	s_delay_alu instid0(VALU_DEP_1) | instskip(NEXT) | instid1(VALU_DEP_1)
	v_add_nc_u32_e32 v9, v8, v9
	v_lshrrev_b32_e32 v9, s42, v9
	s_delay_alu instid0(VALU_DEP_1) | instskip(SKIP_1) | instid1(VALU_DEP_2)
	v_mul_hi_u32 v10, s44, v9
	v_mul_lo_u32 v42, v9, s40
	v_add_nc_u32_e32 v10, v9, v10
	s_delay_alu instid0(VALU_DEP_2) | instskip(NEXT) | instid1(VALU_DEP_2)
	v_sub_nc_u32_e32 v42, v8, v42
	v_lshrrev_b32_e32 v10, s45, v10
	s_delay_alu instid0(VALU_DEP_2) | instskip(NEXT) | instid1(VALU_DEP_2)
	v_mul_lo_u32 v42, v42, s52
	v_mul_hi_u32 v16, s47, v10
	v_mul_lo_u32 v43, v10, s43
	s_delay_alu instid0(VALU_DEP_2) | instskip(NEXT) | instid1(VALU_DEP_2)
	v_add_nc_u32_e32 v16, v10, v16
	v_sub_nc_u32_e32 v9, v9, v43
	s_delay_alu instid0(VALU_DEP_2) | instskip(NEXT) | instid1(VALU_DEP_2)
	v_lshrrev_b32_e32 v16, s48, v16
	v_mul_lo_u32 v9, v9, s53
	s_delay_alu instid0(VALU_DEP_2) | instskip(NEXT) | instid1(VALU_DEP_2)
	v_mul_hi_u32 v41, s50, v16
	v_add3_u32 v0, v42, v0, v9
	s_delay_alu instid0(VALU_DEP_2) | instskip(NEXT) | instid1(VALU_DEP_1)
	v_add_nc_u32_e32 v41, v16, v41
	v_lshrrev_b32_e32 v8, s51, v41
	v_mul_lo_u32 v41, v16, s46
	s_delay_alu instid0(VALU_DEP_2) | instskip(NEXT) | instid1(VALU_DEP_2)
	v_mul_lo_u32 v44, v8, s49
	v_sub_nc_u32_e32 v10, v10, v41
	s_delay_alu instid0(VALU_DEP_2) | instskip(NEXT) | instid1(VALU_DEP_2)
	v_sub_nc_u32_e32 v16, v16, v44
	v_mul_lo_u32 v10, v10, s54
	s_delay_alu instid0(VALU_DEP_2) | instskip(NEXT) | instid1(VALU_DEP_1)
	v_mul_lo_u32 v16, v16, s55
	v_add3_u32 v0, v10, v0, v16
	s_cbranch_scc0 .LBB3_39
; %bb.40:                               ;   in Loop: Header=BB3_9 Depth=1
	s_mov_b32 s20, s31
	s_and_not1_b32 vcc_lo, exec_lo, s34
	s_cbranch_vccz .LBB3_43
	s_branch .LBB3_45
.LBB3_41:                               ;   in Loop: Header=BB3_9 Depth=1
                                        ; implicit-def: $vgpr0
	s_branch .LBB3_46
.LBB3_42:                               ;   in Loop: Header=BB3_9 Depth=1
	v_mov_b32_e32 v8, v7
	s_and_not1_b32 vcc_lo, exec_lo, s34
	s_cbranch_vccnz .LBB3_45
.LBB3_43:                               ;   in Loop: Header=BB3_9 Depth=1
	s_lshl_b32 s21, s20, 2
	s_mul_i32 s22, s20, 12
	s_add_u32 s20, s0, s21
	s_addc_u32 s21, s1, 0
	s_add_u32 s22, s18, s22
	s_addc_u32 s23, s19, 0
	s_mov_b32 s36, s29
	.p2align	6
.LBB3_44:                               ;   Parent Loop BB3_9 Depth=1
                                        ; =>  This Inner Loop Header: Depth=2
	s_clause 0x1
	s_load_b64 s[38:39], s[22:23], 0x4
	s_load_b32 s37, s[22:23], 0xc
	s_add_u32 s22, s22, 12
	s_addc_u32 s23, s23, 0
	s_waitcnt lgkmcnt(0)
	v_mul_hi_u32 v9, s39, v8
	s_load_b32 s39, s[20:21], 0x0
	s_add_u32 s20, s20, 4
	s_addc_u32 s21, s21, 0
	s_add_i32 s36, s36, -1
	s_delay_alu instid0(SALU_CYCLE_1) | instskip(NEXT) | instid1(VALU_DEP_1)
	s_cmp_lg_u32 s36, 0
	v_add_nc_u32_e32 v9, v8, v9
	s_delay_alu instid0(VALU_DEP_1) | instskip(NEXT) | instid1(VALU_DEP_1)
	v_lshrrev_b32_e32 v16, s37, v9
	v_mul_lo_u32 v9, v16, s38
	s_delay_alu instid0(VALU_DEP_1) | instskip(SKIP_1) | instid1(VALU_DEP_1)
	v_sub_nc_u32_e32 v8, v8, v9
	s_waitcnt lgkmcnt(0)
	v_mad_u64_u32 v[9:10], null, v8, s39, v[0:1]
	v_mov_b32_e32 v8, v16
	s_delay_alu instid0(VALU_DEP_2)
	v_mov_b32_e32 v0, v9
	s_cbranch_scc1 .LBB3_44
.LBB3_45:                               ;   in Loop: Header=BB3_9 Depth=1
	s_cbranch_execnz .LBB3_48
.LBB3_46:                               ;   in Loop: Header=BB3_9 Depth=1
	v_mul_hi_u32 v0, v7, s6
	s_and_not1_b32 vcc_lo, exec_lo, s4
	s_delay_alu instid0(VALU_DEP_1) | instskip(NEXT) | instid1(VALU_DEP_1)
	v_add_nc_u32_e32 v0, v0, v7
	v_lshrrev_b32_e32 v8, s7, v0
	s_delay_alu instid0(VALU_DEP_1) | instskip(NEXT) | instid1(VALU_DEP_1)
	v_mul_lo_u32 v0, v8, s5
	v_sub_nc_u32_e32 v0, v7, v0
	s_waitcnt lgkmcnt(0)
	s_delay_alu instid0(VALU_DEP_1)
	v_mul_lo_u32 v0, v0, s14
	s_cbranch_vccnz .LBB3_48
; %bb.47:                               ;   in Loop: Header=BB3_9 Depth=1
	v_mul_hi_u32 v7, s9, v8
	s_delay_alu instid0(VALU_DEP_1) | instskip(NEXT) | instid1(VALU_DEP_1)
	v_add_nc_u32_e32 v7, v8, v7
	v_lshrrev_b32_e32 v7, s10, v7
	s_delay_alu instid0(VALU_DEP_1) | instskip(NEXT) | instid1(VALU_DEP_1)
	v_mul_lo_u32 v7, v7, s8
	v_sub_nc_u32_e32 v9, v8, v7
	s_delay_alu instid0(VALU_DEP_1) | instskip(NEXT) | instid1(VALU_DEP_1)
	v_mad_u64_u32 v[7:8], null, v9, s15, v[0:1]
	v_mov_b32_e32 v0, v7
.LBB3_48:                               ;   in Loop: Header=BB3_9 Depth=1
	v_cvt_f32_u32_e32 v1, v1
	s_delay_alu instid0(VALU_DEP_1) | instskip(NEXT) | instid1(VALU_DEP_1)
	v_fmaak_f32 v1, 0x2f800000, v1, 0x2f800000
	v_cmp_gt_f32_e32 vcc_lo, 0x800000, v1
	v_cndmask_b32_e64 v7, 1.0, 0x4f800000, vcc_lo
	s_delay_alu instid0(VALU_DEP_1) | instskip(NEXT) | instid1(VALU_DEP_1)
	v_mul_f32_e32 v1, v1, v7
	v_log_f32_e32 v1, v1
	s_waitcnt_depctr 0xfff
	v_mul_f32_e32 v7, 0x3f317217, v1
	s_delay_alu instid0(VALU_DEP_1) | instskip(NEXT) | instid1(VALU_DEP_1)
	v_fma_f32 v8, 0x3f317217, v1, -v7
	v_fmac_f32_e32 v8, 0x3377d1cf, v1
	s_delay_alu instid0(VALU_DEP_1) | instskip(SKIP_2) | instid1(VALU_DEP_3)
	v_add_f32_e32 v7, v7, v8
	v_cndmask_b32_e64 v8, 0, 0x41b17218, vcc_lo
	v_cmp_gt_f32_e64 vcc_lo, 0x7f800000, |v1|
	v_cndmask_b32_e32 v1, v1, v7, vcc_lo
	s_delay_alu instid0(VALU_DEP_1) | instskip(NEXT) | instid1(VALU_DEP_1)
	v_sub_f32_e32 v1, v1, v8
	v_div_scale_f32 v7, null, v39, v39, v1
	s_delay_alu instid0(VALU_DEP_1) | instskip(SKIP_2) | instid1(VALU_DEP_1)
	v_rcp_f32_e32 v8, v7
	s_waitcnt_depctr 0xfff
	v_fma_f32 v9, -v7, v8, 1.0
	v_fmac_f32_e32 v8, v9, v8
	v_div_scale_f32 v9, vcc_lo, v1, v39, v1
	s_delay_alu instid0(VALU_DEP_1) | instskip(NEXT) | instid1(VALU_DEP_1)
	v_mul_f32_e32 v10, v9, v8
	v_fma_f32 v16, -v7, v10, v9
	s_delay_alu instid0(VALU_DEP_1) | instskip(NEXT) | instid1(VALU_DEP_1)
	v_fmac_f32_e32 v10, v16, v8
	v_fma_f32 v7, -v7, v10, v9
	s_delay_alu instid0(VALU_DEP_1) | instskip(NEXT) | instid1(VALU_DEP_1)
	v_div_fmas_f32 v7, v7, v8, v10
	v_div_fixup_f32 v1, v7, v39, v1
	s_delay_alu instid0(VALU_DEP_1) | instskip(NEXT) | instid1(VALU_DEP_1)
	v_ceil_f32_e32 v1, v1
	v_cvt_i32_f32_e32 v1, v1
	global_store_b8 v0, v1, s[12:13]
.LBB3_49:                               ;   in Loop: Header=BB3_9 Depth=1
	s_or_b32 exec_lo, exec_lo, s35
	v_add_co_u32 v0, vcc_lo, v13, s28
	v_add_co_ci_u32_e32 v1, vcc_lo, 0, v14, vcc_lo
	s_mov_b32 s35, exec_lo
	s_delay_alu instid0(VALU_DEP_1)
	v_cmpx_gt_i64_e64 s[16:17], v[0:1]
	s_cbranch_execz .LBB3_64
; %bb.50:                               ;   in Loop: Header=BB3_9 Depth=1
	s_and_not1_b32 vcc_lo, exec_lo, s11
	s_cbranch_vccnz .LBB3_56
; %bb.51:                               ;   in Loop: Header=BB3_9 Depth=1
	v_mov_b32_e32 v1, 0
	s_and_not1_b32 vcc_lo, exec_lo, s27
	s_cbranch_vccnz .LBB3_60
; %bb.52:                               ;   in Loop: Header=BB3_9 Depth=1
	s_and_not1_b32 vcc_lo, exec_lo, s30
	s_mov_b32 s20, 0
	s_cbranch_vccnz .LBB3_57
; %bb.53:                               ;   in Loop: Header=BB3_9 Depth=1
	v_mov_b32_e32 v1, 0
	v_mov_b32_e32 v7, v0
	s_mov_b32 s36, 0
	s_mov_b64 s[20:21], s[18:19]
	s_mov_b64 s[22:23], s[0:1]
.LBB3_54:                               ;   Parent Loop BB3_9 Depth=1
                                        ; =>  This Inner Loop Header: Depth=2
	s_clause 0x1
	s_load_b256 s[40:47], s[20:21], 0x4
	s_load_b128 s[48:51], s[20:21], 0x24
	s_load_b128 s[52:55], s[22:23], 0x0
	s_add_u32 s20, s20, 48
	s_addc_u32 s21, s21, 0
	s_add_i32 s36, s36, 4
	s_add_u32 s22, s22, 16
	s_addc_u32 s23, s23, 0
	s_cmp_eq_u32 s31, s36
	s_waitcnt lgkmcnt(0)
	v_mul_hi_u32 v8, s41, v7
	s_delay_alu instid0(VALU_DEP_1) | instskip(NEXT) | instid1(VALU_DEP_1)
	v_add_nc_u32_e32 v8, v7, v8
	v_lshrrev_b32_e32 v8, s42, v8
	s_delay_alu instid0(VALU_DEP_1) | instskip(SKIP_1) | instid1(VALU_DEP_2)
	v_mul_hi_u32 v9, s44, v8
	v_mul_lo_u32 v41, v8, s40
	v_add_nc_u32_e32 v9, v8, v9
	s_delay_alu instid0(VALU_DEP_2) | instskip(NEXT) | instid1(VALU_DEP_2)
	v_sub_nc_u32_e32 v41, v7, v41
	v_lshrrev_b32_e32 v9, s45, v9
	s_delay_alu instid0(VALU_DEP_2) | instskip(NEXT) | instid1(VALU_DEP_2)
	v_mul_lo_u32 v41, v41, s52
	v_mul_hi_u32 v10, s47, v9
	v_mul_lo_u32 v42, v9, s43
	s_delay_alu instid0(VALU_DEP_2) | instskip(NEXT) | instid1(VALU_DEP_2)
	v_add_nc_u32_e32 v10, v9, v10
	v_sub_nc_u32_e32 v8, v8, v42
	s_delay_alu instid0(VALU_DEP_2) | instskip(NEXT) | instid1(VALU_DEP_2)
	v_lshrrev_b32_e32 v10, s48, v10
	v_mul_lo_u32 v8, v8, s53
	s_delay_alu instid0(VALU_DEP_2) | instskip(NEXT) | instid1(VALU_DEP_2)
	v_mul_hi_u32 v16, s50, v10
	v_add3_u32 v1, v41, v1, v8
	s_delay_alu instid0(VALU_DEP_2) | instskip(NEXT) | instid1(VALU_DEP_1)
	v_add_nc_u32_e32 v16, v10, v16
	v_lshrrev_b32_e32 v7, s51, v16
	v_mul_lo_u32 v16, v10, s46
	s_delay_alu instid0(VALU_DEP_2) | instskip(NEXT) | instid1(VALU_DEP_2)
	v_mul_lo_u32 v43, v7, s49
	v_sub_nc_u32_e32 v9, v9, v16
	s_delay_alu instid0(VALU_DEP_2) | instskip(NEXT) | instid1(VALU_DEP_2)
	v_sub_nc_u32_e32 v10, v10, v43
	v_mul_lo_u32 v9, v9, s54
	s_delay_alu instid0(VALU_DEP_2) | instskip(NEXT) | instid1(VALU_DEP_1)
	v_mul_lo_u32 v10, v10, s55
	v_add3_u32 v1, v9, v1, v10
	s_cbranch_scc0 .LBB3_54
; %bb.55:                               ;   in Loop: Header=BB3_9 Depth=1
	s_mov_b32 s20, s31
	s_and_not1_b32 vcc_lo, exec_lo, s34
	s_cbranch_vccz .LBB3_58
	s_branch .LBB3_60
.LBB3_56:                               ;   in Loop: Header=BB3_9 Depth=1
                                        ; implicit-def: $vgpr1
	s_branch .LBB3_61
.LBB3_57:                               ;   in Loop: Header=BB3_9 Depth=1
	v_mov_b32_e32 v7, v0
	s_and_not1_b32 vcc_lo, exec_lo, s34
	s_cbranch_vccnz .LBB3_60
.LBB3_58:                               ;   in Loop: Header=BB3_9 Depth=1
	s_lshl_b32 s21, s20, 2
	s_mul_i32 s22, s20, 12
	s_add_u32 s20, s0, s21
	s_addc_u32 s21, s1, 0
	s_add_u32 s22, s18, s22
	s_addc_u32 s23, s19, 0
	s_mov_b32 s36, s29
	.p2align	6
.LBB3_59:                               ;   Parent Loop BB3_9 Depth=1
                                        ; =>  This Inner Loop Header: Depth=2
	s_clause 0x1
	s_load_b64 s[38:39], s[22:23], 0x4
	s_load_b32 s37, s[22:23], 0xc
	s_add_u32 s22, s22, 12
	s_addc_u32 s23, s23, 0
	s_waitcnt lgkmcnt(0)
	v_mul_hi_u32 v8, s39, v7
	s_load_b32 s39, s[20:21], 0x0
	s_add_u32 s20, s20, 4
	s_addc_u32 s21, s21, 0
	s_add_i32 s36, s36, -1
	s_delay_alu instid0(SALU_CYCLE_1) | instskip(NEXT) | instid1(VALU_DEP_1)
	s_cmp_lg_u32 s36, 0
	v_add_nc_u32_e32 v8, v7, v8
	s_delay_alu instid0(VALU_DEP_1) | instskip(NEXT) | instid1(VALU_DEP_1)
	v_lshrrev_b32_e32 v10, s37, v8
	v_mul_lo_u32 v8, v10, s38
	s_delay_alu instid0(VALU_DEP_1) | instskip(SKIP_1) | instid1(VALU_DEP_1)
	v_sub_nc_u32_e32 v7, v7, v8
	s_waitcnt lgkmcnt(0)
	v_mad_u64_u32 v[8:9], null, v7, s39, v[1:2]
	v_mov_b32_e32 v7, v10
	s_delay_alu instid0(VALU_DEP_2)
	v_mov_b32_e32 v1, v8
	s_cbranch_scc1 .LBB3_59
.LBB3_60:                               ;   in Loop: Header=BB3_9 Depth=1
	s_cbranch_execnz .LBB3_63
.LBB3_61:                               ;   in Loop: Header=BB3_9 Depth=1
	v_mul_hi_u32 v1, v0, s6
	s_and_not1_b32 vcc_lo, exec_lo, s4
	s_delay_alu instid0(VALU_DEP_1) | instskip(NEXT) | instid1(VALU_DEP_1)
	v_add_nc_u32_e32 v1, v1, v0
	v_lshrrev_b32_e32 v7, s7, v1
	s_delay_alu instid0(VALU_DEP_1) | instskip(NEXT) | instid1(VALU_DEP_1)
	v_mul_lo_u32 v1, v7, s5
	v_sub_nc_u32_e32 v0, v0, v1
	s_waitcnt lgkmcnt(0)
	s_delay_alu instid0(VALU_DEP_1)
	v_mul_lo_u32 v1, v0, s14
	s_cbranch_vccnz .LBB3_63
; %bb.62:                               ;   in Loop: Header=BB3_9 Depth=1
	v_mul_hi_u32 v0, s9, v7
	s_delay_alu instid0(VALU_DEP_1) | instskip(NEXT) | instid1(VALU_DEP_1)
	v_add_nc_u32_e32 v0, v7, v0
	v_lshrrev_b32_e32 v0, s10, v0
	s_delay_alu instid0(VALU_DEP_1) | instskip(NEXT) | instid1(VALU_DEP_1)
	v_mul_lo_u32 v0, v0, s8
	v_sub_nc_u32_e32 v0, v7, v0
	s_delay_alu instid0(VALU_DEP_1) | instskip(NEXT) | instid1(VALU_DEP_1)
	v_mad_u64_u32 v[7:8], null, v0, s15, v[1:2]
	v_mov_b32_e32 v1, v7
.LBB3_63:                               ;   in Loop: Header=BB3_9 Depth=1
	v_cvt_f32_u32_e32 v0, v2
	s_delay_alu instid0(VALU_DEP_1) | instskip(NEXT) | instid1(VALU_DEP_1)
	v_fmaak_f32 v0, 0x2f800000, v0, 0x2f800000
	v_cmp_gt_f32_e32 vcc_lo, 0x800000, v0
	v_cndmask_b32_e64 v2, 1.0, 0x4f800000, vcc_lo
	s_delay_alu instid0(VALU_DEP_1) | instskip(NEXT) | instid1(VALU_DEP_1)
	v_mul_f32_e32 v0, v0, v2
	v_log_f32_e32 v0, v0
	s_waitcnt_depctr 0xfff
	v_mul_f32_e32 v2, 0x3f317217, v0
	s_delay_alu instid0(VALU_DEP_1) | instskip(NEXT) | instid1(VALU_DEP_1)
	v_fma_f32 v7, 0x3f317217, v0, -v2
	v_fmac_f32_e32 v7, 0x3377d1cf, v0
	s_delay_alu instid0(VALU_DEP_1) | instskip(SKIP_2) | instid1(VALU_DEP_3)
	v_add_f32_e32 v2, v2, v7
	v_cndmask_b32_e64 v7, 0, 0x41b17218, vcc_lo
	v_cmp_gt_f32_e64 vcc_lo, 0x7f800000, |v0|
	v_cndmask_b32_e32 v0, v0, v2, vcc_lo
	s_delay_alu instid0(VALU_DEP_1) | instskip(NEXT) | instid1(VALU_DEP_1)
	v_sub_f32_e32 v0, v0, v7
	v_div_scale_f32 v2, null, v39, v39, v0
	s_delay_alu instid0(VALU_DEP_1) | instskip(SKIP_2) | instid1(VALU_DEP_1)
	v_rcp_f32_e32 v7, v2
	s_waitcnt_depctr 0xfff
	v_fma_f32 v8, -v2, v7, 1.0
	v_fmac_f32_e32 v7, v8, v7
	v_div_scale_f32 v8, vcc_lo, v0, v39, v0
	s_delay_alu instid0(VALU_DEP_1) | instskip(NEXT) | instid1(VALU_DEP_1)
	v_mul_f32_e32 v9, v8, v7
	v_fma_f32 v10, -v2, v9, v8
	s_delay_alu instid0(VALU_DEP_1) | instskip(NEXT) | instid1(VALU_DEP_1)
	v_fmac_f32_e32 v9, v10, v7
	v_fma_f32 v2, -v2, v9, v8
	s_delay_alu instid0(VALU_DEP_1) | instskip(NEXT) | instid1(VALU_DEP_1)
	v_div_fmas_f32 v2, v2, v7, v9
	v_div_fixup_f32 v0, v2, v39, v0
	s_delay_alu instid0(VALU_DEP_1) | instskip(NEXT) | instid1(VALU_DEP_1)
	v_ceil_f32_e32 v0, v0
	v_cvt_i32_f32_e32 v0, v0
	global_store_b8 v1, v0, s[12:13]
.LBB3_64:                               ;   in Loop: Header=BB3_9 Depth=1
	s_or_b32 exec_lo, exec_lo, s35
	v_add_co_u32 v0, vcc_lo, v13, s33
	v_add_co_ci_u32_e32 v1, vcc_lo, 0, v14, vcc_lo
	s_mov_b32 s35, exec_lo
	s_delay_alu instid0(VALU_DEP_1)
	v_cmpx_gt_i64_e64 s[16:17], v[0:1]
	s_cbranch_execz .LBB3_8
; %bb.65:                               ;   in Loop: Header=BB3_9 Depth=1
	s_and_not1_b32 vcc_lo, exec_lo, s11
	s_cbranch_vccnz .LBB3_71
; %bb.66:                               ;   in Loop: Header=BB3_9 Depth=1
	v_mov_b32_e32 v1, 0
	s_and_not1_b32 vcc_lo, exec_lo, s27
	s_cbranch_vccnz .LBB3_75
; %bb.67:                               ;   in Loop: Header=BB3_9 Depth=1
	s_and_not1_b32 vcc_lo, exec_lo, s30
	s_mov_b32 s20, 0
	s_cbranch_vccnz .LBB3_72
; %bb.68:                               ;   in Loop: Header=BB3_9 Depth=1
	v_dual_mov_b32 v1, 0 :: v_dual_mov_b32 v2, v0
	s_mov_b32 s36, 0
	s_mov_b64 s[20:21], s[18:19]
	s_mov_b64 s[22:23], s[0:1]
.LBB3_69:                               ;   Parent Loop BB3_9 Depth=1
                                        ; =>  This Inner Loop Header: Depth=2
	s_clause 0x1
	s_load_b256 s[40:47], s[20:21], 0x4
	s_load_b128 s[48:51], s[20:21], 0x24
	s_load_b128 s[52:55], s[22:23], 0x0
	s_add_u32 s20, s20, 48
	s_addc_u32 s21, s21, 0
	s_add_i32 s36, s36, 4
	s_add_u32 s22, s22, 16
	s_addc_u32 s23, s23, 0
	s_cmp_eq_u32 s31, s36
	s_waitcnt lgkmcnt(0)
	v_mul_hi_u32 v7, s41, v2
	s_delay_alu instid0(VALU_DEP_1) | instskip(NEXT) | instid1(VALU_DEP_1)
	v_add_nc_u32_e32 v7, v2, v7
	v_lshrrev_b32_e32 v7, s42, v7
	s_delay_alu instid0(VALU_DEP_1) | instskip(SKIP_1) | instid1(VALU_DEP_2)
	v_mul_hi_u32 v8, s44, v7
	v_mul_lo_u32 v16, v7, s40
	v_add_nc_u32_e32 v8, v7, v8
	s_delay_alu instid0(VALU_DEP_2) | instskip(NEXT) | instid1(VALU_DEP_2)
	v_sub_nc_u32_e32 v16, v2, v16
	v_lshrrev_b32_e32 v8, s45, v8
	s_delay_alu instid0(VALU_DEP_2) | instskip(NEXT) | instid1(VALU_DEP_2)
	v_mul_lo_u32 v16, v16, s52
	v_mul_hi_u32 v9, s47, v8
	v_mul_lo_u32 v41, v8, s43
	s_delay_alu instid0(VALU_DEP_2) | instskip(NEXT) | instid1(VALU_DEP_2)
	v_add_nc_u32_e32 v9, v8, v9
	v_sub_nc_u32_e32 v7, v7, v41
	s_delay_alu instid0(VALU_DEP_2) | instskip(NEXT) | instid1(VALU_DEP_2)
	v_lshrrev_b32_e32 v9, s48, v9
	v_mul_lo_u32 v7, v7, s53
	s_delay_alu instid0(VALU_DEP_2) | instskip(NEXT) | instid1(VALU_DEP_2)
	v_mul_hi_u32 v10, s50, v9
	v_add3_u32 v1, v16, v1, v7
	s_delay_alu instid0(VALU_DEP_2) | instskip(NEXT) | instid1(VALU_DEP_1)
	v_add_nc_u32_e32 v10, v9, v10
	v_lshrrev_b32_e32 v2, s51, v10
	v_mul_lo_u32 v10, v9, s46
	s_delay_alu instid0(VALU_DEP_2) | instskip(NEXT) | instid1(VALU_DEP_2)
	v_mul_lo_u32 v42, v2, s49
	v_sub_nc_u32_e32 v8, v8, v10
	s_delay_alu instid0(VALU_DEP_2) | instskip(NEXT) | instid1(VALU_DEP_2)
	v_sub_nc_u32_e32 v9, v9, v42
	v_mul_lo_u32 v8, v8, s54
	s_delay_alu instid0(VALU_DEP_2) | instskip(NEXT) | instid1(VALU_DEP_1)
	v_mul_lo_u32 v9, v9, s55
	v_add3_u32 v1, v8, v1, v9
	s_cbranch_scc0 .LBB3_69
; %bb.70:                               ;   in Loop: Header=BB3_9 Depth=1
	s_mov_b32 s20, s31
	s_and_not1_b32 vcc_lo, exec_lo, s34
	s_cbranch_vccz .LBB3_73
	s_branch .LBB3_75
.LBB3_71:                               ;   in Loop: Header=BB3_9 Depth=1
                                        ; implicit-def: $vgpr1
	s_branch .LBB3_76
.LBB3_72:                               ;   in Loop: Header=BB3_9 Depth=1
	v_mov_b32_e32 v2, v0
	s_and_not1_b32 vcc_lo, exec_lo, s34
	s_cbranch_vccnz .LBB3_75
.LBB3_73:                               ;   in Loop: Header=BB3_9 Depth=1
	s_lshl_b32 s21, s20, 2
	s_mul_i32 s22, s20, 12
	s_add_u32 s20, s0, s21
	s_addc_u32 s21, s1, 0
	s_add_u32 s22, s18, s22
	s_addc_u32 s23, s19, 0
	s_mov_b32 s36, s29
	.p2align	6
.LBB3_74:                               ;   Parent Loop BB3_9 Depth=1
                                        ; =>  This Inner Loop Header: Depth=2
	s_clause 0x1
	s_load_b64 s[38:39], s[22:23], 0x4
	s_load_b32 s37, s[22:23], 0xc
	s_add_u32 s22, s22, 12
	s_addc_u32 s23, s23, 0
	s_waitcnt lgkmcnt(0)
	v_mul_hi_u32 v7, s39, v2
	s_load_b32 s39, s[20:21], 0x0
	s_add_u32 s20, s20, 4
	s_addc_u32 s21, s21, 0
	s_add_i32 s36, s36, -1
	s_delay_alu instid0(SALU_CYCLE_1) | instskip(NEXT) | instid1(VALU_DEP_1)
	s_cmp_lg_u32 s36, 0
	v_add_nc_u32_e32 v7, v2, v7
	s_delay_alu instid0(VALU_DEP_1) | instskip(NEXT) | instid1(VALU_DEP_1)
	v_lshrrev_b32_e32 v9, s37, v7
	v_mul_lo_u32 v7, v9, s38
	s_delay_alu instid0(VALU_DEP_1) | instskip(SKIP_1) | instid1(VALU_DEP_1)
	v_sub_nc_u32_e32 v2, v2, v7
	s_waitcnt lgkmcnt(0)
	v_mad_u64_u32 v[7:8], null, v2, s39, v[1:2]
	s_delay_alu instid0(VALU_DEP_1)
	v_dual_mov_b32 v2, v9 :: v_dual_mov_b32 v1, v7
	s_cbranch_scc1 .LBB3_74
.LBB3_75:                               ;   in Loop: Header=BB3_9 Depth=1
	s_cbranch_execnz .LBB3_7
.LBB3_76:                               ;   in Loop: Header=BB3_9 Depth=1
	v_mul_hi_u32 v1, v0, s6
	s_and_not1_b32 vcc_lo, exec_lo, s4
	s_delay_alu instid0(VALU_DEP_1) | instskip(NEXT) | instid1(VALU_DEP_1)
	v_add_nc_u32_e32 v1, v1, v0
	v_lshrrev_b32_e32 v2, s7, v1
	s_delay_alu instid0(VALU_DEP_1) | instskip(NEXT) | instid1(VALU_DEP_1)
	v_mul_lo_u32 v1, v2, s5
	v_sub_nc_u32_e32 v0, v0, v1
	s_waitcnt lgkmcnt(0)
	s_delay_alu instid0(VALU_DEP_1)
	v_mul_lo_u32 v1, v0, s14
	s_cbranch_vccnz .LBB3_7
; %bb.77:                               ;   in Loop: Header=BB3_9 Depth=1
	v_mul_hi_u32 v0, s9, v2
	s_delay_alu instid0(VALU_DEP_1) | instskip(NEXT) | instid1(VALU_DEP_1)
	v_add_nc_u32_e32 v0, v2, v0
	v_lshrrev_b32_e32 v0, s10, v0
	s_delay_alu instid0(VALU_DEP_1) | instskip(NEXT) | instid1(VALU_DEP_1)
	v_mul_lo_u32 v0, v0, s8
	v_sub_nc_u32_e32 v0, v2, v0
	s_delay_alu instid0(VALU_DEP_1) | instskip(NEXT) | instid1(VALU_DEP_1)
	v_mad_u64_u32 v[7:8], null, v0, s15, v[1:2]
	v_mov_b32_e32 v1, v7
	s_branch .LBB3_7
.LBB3_78:
	s_endpgm
.LBB3_79:
                                        ; implicit-def: $sgpr2_sgpr3
	s_branch .LBB3_4
	.section	.rodata,"a",@progbits
	.p2align	6, 0x0
	.amdhsa_kernel _ZN2at6native12_GLOBAL__N_143distribution_elementwise_grid_stride_kernelIfLi4EZNS0_9templates4cuda21uniform_and_transformIhfPNS_17CUDAGeneratorImplEZZZNS4_16geometric_kernelIS7_EEvRNS_18TensorIteratorBaseEdT_ENKUlvE_clEvENKUlvE_clEvEUlfE_EEvSA_T1_T2_EUlP25hiprandStatePhilox4_32_10E0_ZNS1_27distribution_nullary_kernelIhf15HIP_vector_typeIfLj4EES7_SJ_SE_EEvSA_SG_RKT3_T4_EUlifE0_EEvlNS_15PhiloxCudaStateESF_SG_
		.amdhsa_group_segment_fixed_size 0
		.amdhsa_private_segment_fixed_size 0
		.amdhsa_kernarg_size 584
		.amdhsa_user_sgpr_count 15
		.amdhsa_user_sgpr_dispatch_ptr 0
		.amdhsa_user_sgpr_queue_ptr 0
		.amdhsa_user_sgpr_kernarg_segment_ptr 1
		.amdhsa_user_sgpr_dispatch_id 0
		.amdhsa_user_sgpr_private_segment_size 0
		.amdhsa_wavefront_size32 1
		.amdhsa_uses_dynamic_stack 0
		.amdhsa_enable_private_segment 0
		.amdhsa_system_sgpr_workgroup_id_x 1
		.amdhsa_system_sgpr_workgroup_id_y 0
		.amdhsa_system_sgpr_workgroup_id_z 0
		.amdhsa_system_sgpr_workgroup_info 0
		.amdhsa_system_vgpr_workitem_id 0
		.amdhsa_next_free_vgpr 45
		.amdhsa_next_free_sgpr 56
		.amdhsa_reserve_vcc 1
		.amdhsa_float_round_mode_32 0
		.amdhsa_float_round_mode_16_64 0
		.amdhsa_float_denorm_mode_32 3
		.amdhsa_float_denorm_mode_16_64 3
		.amdhsa_dx10_clamp 1
		.amdhsa_ieee_mode 1
		.amdhsa_fp16_overflow 0
		.amdhsa_workgroup_processor_mode 1
		.amdhsa_memory_ordered 1
		.amdhsa_forward_progress 0
		.amdhsa_shared_vgpr_count 0
		.amdhsa_exception_fp_ieee_invalid_op 0
		.amdhsa_exception_fp_denorm_src 0
		.amdhsa_exception_fp_ieee_div_zero 0
		.amdhsa_exception_fp_ieee_overflow 0
		.amdhsa_exception_fp_ieee_underflow 0
		.amdhsa_exception_fp_ieee_inexact 0
		.amdhsa_exception_int_div_zero 0
	.end_amdhsa_kernel
	.section	.text._ZN2at6native12_GLOBAL__N_143distribution_elementwise_grid_stride_kernelIfLi4EZNS0_9templates4cuda21uniform_and_transformIhfPNS_17CUDAGeneratorImplEZZZNS4_16geometric_kernelIS7_EEvRNS_18TensorIteratorBaseEdT_ENKUlvE_clEvENKUlvE_clEvEUlfE_EEvSA_T1_T2_EUlP25hiprandStatePhilox4_32_10E0_ZNS1_27distribution_nullary_kernelIhf15HIP_vector_typeIfLj4EES7_SJ_SE_EEvSA_SG_RKT3_T4_EUlifE0_EEvlNS_15PhiloxCudaStateESF_SG_,"axG",@progbits,_ZN2at6native12_GLOBAL__N_143distribution_elementwise_grid_stride_kernelIfLi4EZNS0_9templates4cuda21uniform_and_transformIhfPNS_17CUDAGeneratorImplEZZZNS4_16geometric_kernelIS7_EEvRNS_18TensorIteratorBaseEdT_ENKUlvE_clEvENKUlvE_clEvEUlfE_EEvSA_T1_T2_EUlP25hiprandStatePhilox4_32_10E0_ZNS1_27distribution_nullary_kernelIhf15HIP_vector_typeIfLj4EES7_SJ_SE_EEvSA_SG_RKT3_T4_EUlifE0_EEvlNS_15PhiloxCudaStateESF_SG_,comdat
.Lfunc_end3:
	.size	_ZN2at6native12_GLOBAL__N_143distribution_elementwise_grid_stride_kernelIfLi4EZNS0_9templates4cuda21uniform_and_transformIhfPNS_17CUDAGeneratorImplEZZZNS4_16geometric_kernelIS7_EEvRNS_18TensorIteratorBaseEdT_ENKUlvE_clEvENKUlvE_clEvEUlfE_EEvSA_T1_T2_EUlP25hiprandStatePhilox4_32_10E0_ZNS1_27distribution_nullary_kernelIhf15HIP_vector_typeIfLj4EES7_SJ_SE_EEvSA_SG_RKT3_T4_EUlifE0_EEvlNS_15PhiloxCudaStateESF_SG_, .Lfunc_end3-_ZN2at6native12_GLOBAL__N_143distribution_elementwise_grid_stride_kernelIfLi4EZNS0_9templates4cuda21uniform_and_transformIhfPNS_17CUDAGeneratorImplEZZZNS4_16geometric_kernelIS7_EEvRNS_18TensorIteratorBaseEdT_ENKUlvE_clEvENKUlvE_clEvEUlfE_EEvSA_T1_T2_EUlP25hiprandStatePhilox4_32_10E0_ZNS1_27distribution_nullary_kernelIhf15HIP_vector_typeIfLj4EES7_SJ_SE_EEvSA_SG_RKT3_T4_EUlifE0_EEvlNS_15PhiloxCudaStateESF_SG_
                                        ; -- End function
	.section	.AMDGPU.csdata,"",@progbits
; Kernel info:
; codeLenInByte = 6756
; NumSgprs: 58
; NumVgprs: 45
; ScratchSize: 0
; MemoryBound: 0
; FloatMode: 240
; IeeeMode: 1
; LDSByteSize: 0 bytes/workgroup (compile time only)
; SGPRBlocks: 7
; VGPRBlocks: 5
; NumSGPRsForWavesPerEU: 58
; NumVGPRsForWavesPerEU: 45
; Occupancy: 16
; WaveLimiterHint : 1
; COMPUTE_PGM_RSRC2:SCRATCH_EN: 0
; COMPUTE_PGM_RSRC2:USER_SGPR: 15
; COMPUTE_PGM_RSRC2:TRAP_HANDLER: 0
; COMPUTE_PGM_RSRC2:TGID_X_EN: 1
; COMPUTE_PGM_RSRC2:TGID_Y_EN: 0
; COMPUTE_PGM_RSRC2:TGID_Z_EN: 0
; COMPUTE_PGM_RSRC2:TIDIG_COMP_CNT: 0
	.section	.text._ZN2at6native12_GLOBAL__N_143distribution_elementwise_grid_stride_kernelIfLi4EZNS0_9templates4cuda21uniform_and_transformIafPNS_17CUDAGeneratorImplEZZZNS4_16geometric_kernelIS7_EEvRNS_18TensorIteratorBaseEdT_ENKUlvE_clEvENKUlvE0_clEvEUlfE_EEvSA_T1_T2_EUlP25hiprandStatePhilox4_32_10E_ZNS1_27distribution_nullary_kernelIaf15HIP_vector_typeIdLj2EES7_SJ_SE_EEvSA_SG_RKT3_T4_EUlifE_EEvlNS_15PhiloxCudaStateESF_SG_,"axG",@progbits,_ZN2at6native12_GLOBAL__N_143distribution_elementwise_grid_stride_kernelIfLi4EZNS0_9templates4cuda21uniform_and_transformIafPNS_17CUDAGeneratorImplEZZZNS4_16geometric_kernelIS7_EEvRNS_18TensorIteratorBaseEdT_ENKUlvE_clEvENKUlvE0_clEvEUlfE_EEvSA_T1_T2_EUlP25hiprandStatePhilox4_32_10E_ZNS1_27distribution_nullary_kernelIaf15HIP_vector_typeIdLj2EES7_SJ_SE_EEvSA_SG_RKT3_T4_EUlifE_EEvlNS_15PhiloxCudaStateESF_SG_,comdat
	.globl	_ZN2at6native12_GLOBAL__N_143distribution_elementwise_grid_stride_kernelIfLi4EZNS0_9templates4cuda21uniform_and_transformIafPNS_17CUDAGeneratorImplEZZZNS4_16geometric_kernelIS7_EEvRNS_18TensorIteratorBaseEdT_ENKUlvE_clEvENKUlvE0_clEvEUlfE_EEvSA_T1_T2_EUlP25hiprandStatePhilox4_32_10E_ZNS1_27distribution_nullary_kernelIaf15HIP_vector_typeIdLj2EES7_SJ_SE_EEvSA_SG_RKT3_T4_EUlifE_EEvlNS_15PhiloxCudaStateESF_SG_ ; -- Begin function _ZN2at6native12_GLOBAL__N_143distribution_elementwise_grid_stride_kernelIfLi4EZNS0_9templates4cuda21uniform_and_transformIafPNS_17CUDAGeneratorImplEZZZNS4_16geometric_kernelIS7_EEvRNS_18TensorIteratorBaseEdT_ENKUlvE_clEvENKUlvE0_clEvEUlfE_EEvSA_T1_T2_EUlP25hiprandStatePhilox4_32_10E_ZNS1_27distribution_nullary_kernelIaf15HIP_vector_typeIdLj2EES7_SJ_SE_EEvSA_SG_RKT3_T4_EUlifE_EEvlNS_15PhiloxCudaStateESF_SG_
	.p2align	8
	.type	_ZN2at6native12_GLOBAL__N_143distribution_elementwise_grid_stride_kernelIfLi4EZNS0_9templates4cuda21uniform_and_transformIafPNS_17CUDAGeneratorImplEZZZNS4_16geometric_kernelIS7_EEvRNS_18TensorIteratorBaseEdT_ENKUlvE_clEvENKUlvE0_clEvEUlfE_EEvSA_T1_T2_EUlP25hiprandStatePhilox4_32_10E_ZNS1_27distribution_nullary_kernelIaf15HIP_vector_typeIdLj2EES7_SJ_SE_EEvSA_SG_RKT3_T4_EUlifE_EEvlNS_15PhiloxCudaStateESF_SG_,@function
_ZN2at6native12_GLOBAL__N_143distribution_elementwise_grid_stride_kernelIfLi4EZNS0_9templates4cuda21uniform_and_transformIafPNS_17CUDAGeneratorImplEZZZNS4_16geometric_kernelIS7_EEvRNS_18TensorIteratorBaseEdT_ENKUlvE_clEvENKUlvE0_clEvEUlfE_EEvSA_T1_T2_EUlP25hiprandStatePhilox4_32_10E_ZNS1_27distribution_nullary_kernelIaf15HIP_vector_typeIdLj2EES7_SJ_SE_EEvSA_SG_RKT3_T4_EUlifE_EEvlNS_15PhiloxCudaStateESF_SG_: ; @_ZN2at6native12_GLOBAL__N_143distribution_elementwise_grid_stride_kernelIfLi4EZNS0_9templates4cuda21uniform_and_transformIafPNS_17CUDAGeneratorImplEZZZNS4_16geometric_kernelIS7_EEvRNS_18TensorIteratorBaseEdT_ENKUlvE_clEvENKUlvE0_clEvEUlfE_EEvSA_T1_T2_EUlP25hiprandStatePhilox4_32_10E_ZNS1_27distribution_nullary_kernelIaf15HIP_vector_typeIdLj2EES7_SJ_SE_EEvSA_SG_RKT3_T4_EUlifE_EEvlNS_15PhiloxCudaStateESF_SG_
; %bb.0:
	s_clause 0x2
	s_load_b64 s[8:9], s[0:1], 0x10
	s_load_b128 s[4:7], s[0:1], 0x0
	s_load_b32 s2, s[0:1], 0x20
	s_waitcnt lgkmcnt(0)
	v_dual_mov_b32 v2, s8 :: v_dual_mov_b32 v3, s9
	v_dual_mov_b32 v9, s7 :: v_dual_mov_b32 v8, s6
	s_bitcmp0_b32 s2, 0
	s_mov_b32 s2, 0
	s_cbranch_scc1 .LBB4_2
; %bb.1:
	v_dual_mov_b32 v1, s8 :: v_dual_mov_b32 v2, s9
	v_dual_mov_b32 v4, s6 :: v_dual_mov_b32 v5, s7
	s_load_b64 s[6:7], s[0:1], 0x18
	flat_load_b64 v[2:3], v[1:2]
	flat_load_b64 v[8:9], v[4:5]
	s_waitcnt vmcnt(1) lgkmcnt(0)
	v_add_co_u32 v2, vcc_lo, v2, s6
	v_add_co_ci_u32_e32 v3, vcc_lo, s7, v3, vcc_lo
.LBB4_2:
	s_clause 0x1
	s_load_b32 s3, s[0:1], 0x54
	s_load_b32 s11, s[0:1], 0x48
	s_waitcnt lgkmcnt(0)
	s_and_b32 s10, s3, 0xffff
	s_add_u32 s6, s4, -1
	s_mul_i32 s8, s11, s10
	s_addc_u32 s3, s5, -1
	s_lshl_b32 s9, s8, 2
	s_cmp_lg_u64 s[2:3], 0
	s_cbranch_scc0 .LBB4_27
; %bb.3:
	v_cvt_f32_ubyte0_e32 v1, 0
	v_cvt_f32_u32_e32 v4, s9
	s_sub_u32 s12, 0, s9
	s_subb_u32 s13, 0, 0
	s_delay_alu instid0(VALU_DEP_1) | instskip(NEXT) | instid1(VALU_DEP_1)
	v_fmamk_f32 v1, v1, 0x4f800000, v4
	v_rcp_f32_e32 v1, v1
	s_waitcnt_depctr 0xfff
	v_mul_f32_e32 v1, 0x5f7ffffc, v1
	s_delay_alu instid0(VALU_DEP_1) | instskip(NEXT) | instid1(VALU_DEP_1)
	v_mul_f32_e32 v4, 0x2f800000, v1
	v_trunc_f32_e32 v4, v4
	s_delay_alu instid0(VALU_DEP_1) | instskip(SKIP_1) | instid1(VALU_DEP_2)
	v_fmamk_f32 v1, v4, 0xcf800000, v1
	v_cvt_u32_f32_e32 v4, v4
	v_cvt_u32_f32_e32 v1, v1
	s_delay_alu instid0(VALU_DEP_2) | instskip(NEXT) | instid1(VALU_DEP_2)
	v_readfirstlane_b32 s2, v4
	v_readfirstlane_b32 s7, v1
	s_delay_alu instid0(VALU_DEP_2) | instskip(NEXT) | instid1(VALU_DEP_1)
	s_mul_i32 s14, s12, s2
	s_mul_hi_u32 s17, s12, s7
	s_mul_i32 s16, s13, s7
	s_add_i32 s14, s17, s14
	s_mul_i32 s18, s12, s7
	s_add_i32 s14, s14, s16
	s_mul_hi_u32 s17, s7, s18
	s_mul_hi_u32 s19, s2, s18
	s_mul_i32 s16, s2, s18
	s_mul_hi_u32 s18, s7, s14
	s_mul_i32 s7, s7, s14
	s_mul_hi_u32 s20, s2, s14
	s_add_u32 s7, s17, s7
	s_addc_u32 s17, 0, s18
	s_add_u32 s7, s7, s16
	s_mul_i32 s14, s2, s14
	s_addc_u32 s7, s17, s19
	s_addc_u32 s16, s20, 0
	s_add_u32 s7, s7, s14
	s_addc_u32 s14, 0, s16
	v_add_co_u32 v1, s7, v1, s7
	s_delay_alu instid0(VALU_DEP_1) | instskip(SKIP_1) | instid1(VALU_DEP_1)
	s_cmp_lg_u32 s7, 0
	s_addc_u32 s2, s2, s14
	v_readfirstlane_b32 s7, v1
	s_mul_i32 s14, s12, s2
	s_delay_alu instid0(VALU_DEP_1)
	s_mul_hi_u32 s16, s12, s7
	s_mul_i32 s13, s13, s7
	s_add_i32 s14, s16, s14
	s_mul_i32 s12, s12, s7
	s_add_i32 s14, s14, s13
	s_mul_hi_u32 s16, s2, s12
	s_mul_i32 s17, s2, s12
	s_mul_hi_u32 s12, s7, s12
	s_mul_hi_u32 s18, s7, s14
	s_mul_i32 s7, s7, s14
	s_mul_hi_u32 s13, s2, s14
	s_add_u32 s7, s12, s7
	s_addc_u32 s12, 0, s18
	s_add_u32 s7, s7, s17
	s_mul_i32 s14, s2, s14
	s_addc_u32 s7, s12, s16
	s_addc_u32 s12, s13, 0
	s_add_u32 s7, s7, s14
	s_addc_u32 s12, 0, s12
	v_add_co_u32 v1, s7, v1, s7
	s_delay_alu instid0(VALU_DEP_1) | instskip(SKIP_2) | instid1(VALU_DEP_1)
	s_cmp_lg_u32 s7, 0
	s_addc_u32 s7, s2, s12
	s_ashr_i32 s12, s3, 31
	v_readfirstlane_b32 s14, v1
	s_add_u32 s2, s6, s12
	s_mov_b32 s13, s12
	s_addc_u32 s3, s3, s12
	s_delay_alu instid0(SALU_CYCLE_1) | instskip(NEXT) | instid1(SALU_CYCLE_1)
	s_xor_b64 s[2:3], s[2:3], s[12:13]
	s_mul_i32 s17, s2, s7
	s_mul_hi_u32 s18, s2, s14
	s_mul_hi_u32 s16, s2, s7
	;; [unrolled: 1-line block ×3, first 2 shown]
	s_mul_i32 s14, s3, s14
	s_add_u32 s17, s18, s17
	s_addc_u32 s16, 0, s16
	s_mul_hi_u32 s19, s3, s7
	s_add_u32 s14, s17, s14
	s_mul_i32 s7, s3, s7
	s_addc_u32 s14, s16, s20
	s_addc_u32 s16, s19, 0
	s_add_u32 s7, s14, s7
	s_addc_u32 s14, 0, s16
	s_mul_i32 s17, s9, s7
	s_add_u32 s16, s7, 1
	v_sub_co_u32 v1, s2, s2, s17
	s_mul_hi_u32 s17, s9, s7
	s_addc_u32 s18, s14, 0
	s_mul_i32 s19, s9, s14
	s_delay_alu instid0(VALU_DEP_1)
	v_sub_co_u32 v4, s20, v1, s9
	s_add_u32 s21, s7, 2
	s_addc_u32 s22, s14, 0
	s_add_i32 s17, s17, s19
	s_cmp_lg_u32 s2, 0
	v_readfirstlane_b32 s2, v4
	s_subb_u32 s3, s3, s17
	s_cmp_lg_u32 s20, 0
	s_subb_u32 s17, s3, 0
	s_delay_alu instid0(VALU_DEP_1) | instskip(SKIP_4) | instid1(SALU_CYCLE_1)
	s_cmp_ge_u32 s2, s9
	s_cselect_b32 s2, -1, 0
	s_cmp_eq_u32 s17, 0
	v_readfirstlane_b32 s17, v1
	s_cselect_b32 s2, s2, -1
	s_cmp_lg_u32 s2, 0
	s_cselect_b32 s2, s21, s16
	s_cselect_b32 s16, s22, s18
	s_cmp_ge_u32 s17, s9
	s_cselect_b32 s17, -1, 0
	s_cmp_eq_u32 s3, 0
	s_cselect_b32 s3, s17, -1
	s_delay_alu instid0(SALU_CYCLE_1) | instskip(SKIP_2) | instid1(SALU_CYCLE_1)
	s_cmp_lg_u32 s3, 0
	s_cselect_b32 s3, s16, s14
	s_cselect_b32 s2, s2, s7
	s_xor_b64 s[2:3], s[2:3], s[12:13]
	s_delay_alu instid0(SALU_CYCLE_1)
	s_sub_u32 s2, s2, s12
	s_subb_u32 s3, s3, s12
	s_cbranch_execnz .LBB4_5
.LBB4_4:
	v_cvt_f32_u32_e32 v1, s9
	s_sub_i32 s3, 0, s9
	s_delay_alu instid0(VALU_DEP_1) | instskip(SKIP_2) | instid1(VALU_DEP_1)
	v_rcp_iflag_f32_e32 v1, v1
	s_waitcnt_depctr 0xfff
	v_mul_f32_e32 v1, 0x4f7ffffe, v1
	v_cvt_u32_f32_e32 v1, v1
	s_delay_alu instid0(VALU_DEP_1) | instskip(NEXT) | instid1(VALU_DEP_1)
	v_readfirstlane_b32 s2, v1
	s_mul_i32 s3, s3, s2
	s_delay_alu instid0(SALU_CYCLE_1) | instskip(NEXT) | instid1(SALU_CYCLE_1)
	s_mul_hi_u32 s3, s2, s3
	s_add_i32 s2, s2, s3
	s_delay_alu instid0(SALU_CYCLE_1) | instskip(NEXT) | instid1(SALU_CYCLE_1)
	s_mul_hi_u32 s2, s6, s2
	s_mul_i32 s3, s2, s9
	s_delay_alu instid0(SALU_CYCLE_1)
	s_sub_i32 s3, s6, s3
	s_add_i32 s6, s2, 1
	s_sub_i32 s7, s3, s9
	s_cmp_ge_u32 s3, s9
	s_cselect_b32 s2, s6, s2
	s_cselect_b32 s3, s7, s3
	s_add_i32 s6, s2, 1
	s_cmp_ge_u32 s3, s9
	s_mov_b32 s3, 0
	s_cselect_b32 s2, s6, s2
.LBB4_5:
	v_mov_b32_e32 v1, 0
	s_add_u32 s2, s2, 1
	s_addc_u32 s3, s3, 0
	s_mul_hi_u32 s6, s8, s2
	s_mul_i32 s3, s8, s3
	v_mad_u64_u32 v[10:11], null, s10, s15, v[0:1]
	s_mul_hi_u32 s7, s11, s10
	s_add_i32 s3, s6, s3
	s_mul_i32 s7, s7, s2
	s_mul_i32 s2, s8, s2
	s_add_i32 s3, s3, s7
	s_mov_b32 s6, exec_lo
	s_lshl_b64 s[2:3], s[2:3], 2
	s_delay_alu instid0(SALU_CYCLE_1)
	v_cmpx_gt_i64_e64 s[2:3], v[10:11]
	s_cbranch_execz .LBB4_26
; %bb.6:
	s_load_b64 s[6:7], s[0:1], 0x40
	v_alignbit_b32 v21, v3, v2, 2
	v_lshrrev_b32_e32 v22, 2, v3
	s_waitcnt vmcnt(0)
	v_add_co_u32 v20, null, 0x9e3779b9, v8
	v_add_co_u32 v23, null, 0x3c6ef372, v8
	;; [unrolled: 1-line block ×5, first 2 shown]
	s_add_i32 s16, s15, s11
	s_mul_i32 s13, s11, 3
	v_add_co_u32 v26, null, 0xf1bbcdc8, v8
	s_add_i32 s13, s15, s13
	v_mov_b32_e32 v40, v9
	s_waitcnt lgkmcnt(0)
	v_cvt_f32_f64_e32 v32, s[6:7]
	s_clause 0x1
	s_load_b64 s[6:7], s[0:1], 0x30
	s_load_b32 s12, s[0:1], 0x38
	s_mov_b32 s1, 0x3e9b6dac
	s_mov_b32 s0, 0
	v_add_co_u32 v27, null, 0xbb67ae85, v40
	v_log_f32_e32 v33, s0
	s_delay_alu instid0(VALU_DEP_2) | instskip(SKIP_1) | instid1(VALU_DEP_2)
	v_sub_f32_e32 v1, 1.0, v32
	v_cmp_gt_f32_e64 s14, 0x33800000, |v32|
	v_cvt_f64_f32_e32 v[4:5], v1
	s_delay_alu instid0(VALU_DEP_1) | instskip(SKIP_1) | instid1(VALU_DEP_1)
	v_frexp_exp_i32_f64_e32 v4, v[4:5]
	v_frexp_mant_f32_e32 v5, v1
	v_cmp_gt_f32_e32 vcc_lo, 0x3f2aaaab, v5
	v_add_f32_e32 v5, -1.0, v1
	s_delay_alu instid0(VALU_DEP_1) | instskip(SKIP_3) | instid1(VALU_DEP_2)
	v_sub_f32_e32 v7, v5, v1
	v_sub_f32_e64 v5, -v32, v5
	v_subrev_co_ci_u32_e32 v4, vcc_lo, 0, v4, vcc_lo
	v_cmp_eq_f32_e32 vcc_lo, 0xff800000, v32
	v_sub_nc_u32_e32 v6, 0, v4
	v_cvt_f32_i32_e32 v4, v4
	s_delay_alu instid0(VALU_DEP_2) | instskip(NEXT) | instid1(VALU_DEP_1)
	v_ldexp_f32 v1, v1, v6
	v_dual_add_f32 v7, 1.0, v7 :: v_dual_add_f32 v12, 1.0, v1
	s_delay_alu instid0(VALU_DEP_1) | instskip(NEXT) | instid1(VALU_DEP_1)
	v_add_f32_e32 v5, v5, v7
	v_ldexp_f32 v5, v5, v6
	s_delay_alu instid0(VALU_DEP_3) | instskip(NEXT) | instid1(VALU_DEP_1)
	v_dual_add_f32 v6, -1.0, v1 :: v_dual_add_f32 v7, -1.0, v12
	v_add_f32_e32 v13, 1.0, v6
	s_delay_alu instid0(VALU_DEP_2) | instskip(NEXT) | instid1(VALU_DEP_2)
	v_sub_f32_e32 v7, v1, v7
	v_sub_f32_e32 v1, v1, v13
	s_delay_alu instid0(VALU_DEP_1) | instskip(NEXT) | instid1(VALU_DEP_1)
	v_add_f32_e32 v1, v5, v1
	v_dual_add_f32 v14, v6, v1 :: v_dual_add_f32 v7, v5, v7
	s_delay_alu instid0(VALU_DEP_1) | instskip(NEXT) | instid1(VALU_DEP_1)
	v_dual_sub_f32 v6, v14, v6 :: v_dual_add_f32 v13, v12, v7
	v_sub_f32_e32 v1, v1, v6
	s_delay_alu instid0(VALU_DEP_2) | instskip(SKIP_1) | instid1(VALU_DEP_1)
	v_rcp_f32_e32 v5, v13
	v_sub_f32_e32 v12, v13, v12
	v_sub_f32_e32 v7, v7, v12
	s_waitcnt_depctr 0xfff
	v_mul_f32_e32 v15, v14, v5
	s_delay_alu instid0(VALU_DEP_1) | instskip(NEXT) | instid1(VALU_DEP_1)
	v_mul_f32_e32 v16, v13, v15
	v_fma_f32 v12, v15, v13, -v16
	s_delay_alu instid0(VALU_DEP_1) | instskip(NEXT) | instid1(VALU_DEP_1)
	v_fmac_f32_e32 v12, v15, v7
	v_add_f32_e32 v17, v16, v12
	s_delay_alu instid0(VALU_DEP_1) | instskip(SKIP_1) | instid1(VALU_DEP_2)
	v_sub_f32_e32 v18, v14, v17
	v_sub_f32_e32 v6, v17, v16
	;; [unrolled: 1-line block ×3, first 2 shown]
	s_delay_alu instid0(VALU_DEP_2) | instskip(NEXT) | instid1(VALU_DEP_2)
	v_sub_f32_e32 v6, v6, v12
	v_sub_f32_e32 v14, v14, v17
	s_delay_alu instid0(VALU_DEP_1) | instskip(NEXT) | instid1(VALU_DEP_1)
	v_add_f32_e32 v1, v1, v14
	v_add_f32_e32 v1, v6, v1
	s_delay_alu instid0(VALU_DEP_1) | instskip(NEXT) | instid1(VALU_DEP_1)
	v_add_f32_e32 v6, v18, v1
	v_mul_f32_e32 v12, v5, v6
	v_sub_f32_e32 v17, v18, v6
	v_add_co_u32 v18, null, 0x1715609d, v8
	s_delay_alu instid0(VALU_DEP_3) | instskip(NEXT) | instid1(VALU_DEP_3)
	v_mul_f32_e32 v14, v13, v12
	v_add_f32_e32 v1, v1, v17
	v_add_co_u32 v17, null, 0x5384540f, v8
	s_delay_alu instid0(VALU_DEP_3) | instskip(NEXT) | instid1(VALU_DEP_1)
	v_fma_f32 v13, v12, v13, -v14
	v_fmac_f32_e32 v13, v12, v7
	s_delay_alu instid0(VALU_DEP_1) | instskip(NEXT) | instid1(VALU_DEP_1)
	v_add_f32_e32 v7, v14, v13
	v_sub_f32_e32 v16, v6, v7
	s_delay_alu instid0(VALU_DEP_1) | instskip(NEXT) | instid1(VALU_DEP_1)
	v_sub_f32_e32 v6, v6, v16
	v_sub_f32_e32 v6, v6, v7
	s_delay_alu instid0(VALU_DEP_1) | instskip(SKIP_1) | instid1(VALU_DEP_1)
	v_dual_add_f32 v1, v1, v6 :: v_dual_add_f32 v6, v15, v12
	v_sub_f32_e32 v14, v7, v14
	v_dual_sub_f32 v7, v14, v13 :: v_dual_and_b32 v14, 3, v2
	s_delay_alu instid0(VALU_DEP_1) | instskip(NEXT) | instid1(VALU_DEP_4)
	v_add_f32_e32 v1, v7, v1
	v_sub_f32_e32 v7, v6, v15
	s_delay_alu instid0(VALU_DEP_2) | instskip(NEXT) | instid1(VALU_DEP_2)
	v_add_f32_e32 v1, v16, v1
	v_dual_sub_f32 v7, v12, v7 :: v_dual_add_nc_u32 v16, 0x96a522ad, v9
	s_delay_alu instid0(VALU_DEP_2) | instskip(NEXT) | instid1(VALU_DEP_1)
	v_mul_f32_e32 v1, v5, v1
	v_add_f32_e32 v1, v7, v1
	s_delay_alu instid0(VALU_DEP_1) | instskip(NEXT) | instid1(VALU_DEP_1)
	v_add_f32_e32 v5, v6, v1
	v_mul_f32_e32 v7, v5, v5
	s_delay_alu instid0(VALU_DEP_1) | instskip(SKIP_2) | instid1(VALU_DEP_2)
	v_fmaak_f32 v12, s1, v7, 0x3ecc95a3
	v_mul_f32_e32 v13, v5, v7
	s_lshl_b32 s1, s8, 1
	v_fmaak_f32 v7, v7, v12, 0x3f2aaada
	v_ldexp_f32 v12, v5, 1
	v_sub_f32_e32 v5, v5, v6
	s_delay_alu instid0(VALU_DEP_3) | instskip(SKIP_1) | instid1(VALU_DEP_3)
	v_mul_f32_e32 v7, v13, v7
	v_mul_f32_e32 v13, 0x3f317218, v4
	v_sub_f32_e32 v5, v1, v5
	v_mad_u64_u32 v[1:2], null, 0xcd9e8d57, v10, 0
	s_delay_alu instid0(VALU_DEP_4) | instskip(NEXT) | instid1(VALU_DEP_4)
	v_add_f32_e32 v6, v12, v7
	v_fma_f32 v3, 0x3f317218, v4, -v13
	s_delay_alu instid0(VALU_DEP_4) | instskip(NEXT) | instid1(VALU_DEP_3)
	v_ldexp_f32 v5, v5, 1
	v_sub_f32_e32 v12, v6, v12
	v_xor3_b32 v2, v8, v2, v22
	s_delay_alu instid0(VALU_DEP_2) | instskip(SKIP_1) | instid1(VALU_DEP_2)
	v_dual_sub_f32 v7, v7, v12 :: v_dual_fmamk_f32 v12, v4, 0xb102e308, v3
	v_mad_u64_u32 v[3:4], null, 0xd2511f53, v21, 0
	v_add_f32_e32 v7, v5, v7
	s_delay_alu instid0(VALU_DEP_1) | instskip(SKIP_1) | instid1(VALU_DEP_4)
	v_dual_add_f32 v28, v13, v12 :: v_dual_add_f32 v29, v6, v7
	v_add_nc_u32_e32 v15, 0x8ff34781, v8
	v_xor_b32_e32 v31, v4, v9
	v_mad_u64_u32 v[4:5], null, 0xd2511f53, v2, 0
	s_delay_alu instid0(VALU_DEP_4) | instskip(SKIP_1) | instid1(VALU_DEP_4)
	v_add_f32_e32 v30, v28, v29
	v_dual_sub_f32 v13, v28, v13 :: v_dual_sub_f32 v6, v29, v6
	v_xor_b32_e32 v31, v31, v11
	s_delay_alu instid0(VALU_DEP_3) | instskip(NEXT) | instid1(VALU_DEP_3)
	v_sub_f32_e32 v2, v30, v28
	v_dual_sub_f32 v36, v12, v13 :: v_dual_sub_f32 v7, v7, v6
	v_xor3_b32 v35, v27, v5, v3
	s_delay_alu instid0(VALU_DEP_3) | instskip(SKIP_3) | instid1(VALU_DEP_4)
	v_sub_f32_e32 v34, v30, v2
	v_sub_f32_e32 v12, v29, v2
	v_mad_u64_u32 v[2:3], null, 0xcd9e8d57, v31, 0
	v_add_f32_e32 v29, v36, v7
	v_sub_f32_e32 v13, v28, v34
	v_mad_u64_u32 v[5:6], null, 0xcd9e8d57, v35, 0
	s_delay_alu instid0(VALU_DEP_2) | instskip(SKIP_3) | instid1(VALU_DEP_4)
	v_add_f32_e32 v28, v12, v13
	v_mad_u64_u32 v[12:13], null, s15, s10, v[0:1]
	v_sub_f32_e32 v13, v29, v36
	v_xor3_b32 v3, v20, v3, v1
	v_add_f32_e32 v31, v29, v28
	v_xor3_b32 v34, v23, v6, v2
	v_add_co_u32 v28, null, 0x76cf5d0a, v40
	s_delay_alu instid0(VALU_DEP_3) | instskip(SKIP_2) | instid1(VALU_DEP_3)
	v_dual_sub_f32 v6, v29, v13 :: v_dual_add_f32 v35, v30, v31
	v_mad_u64_u32 v[1:2], null, 0xd2511f53, v3, 0
	v_sub_f32_e32 v3, v7, v13
	v_sub_f32_e32 v13, v36, v6
	s_delay_alu instid0(VALU_DEP_4) | instskip(SKIP_2) | instid1(VALU_DEP_4)
	v_sub_f32_e32 v30, v35, v30
	v_mad_u64_u32 v[6:7], null, 0xd2511f53, v34, 0
	v_add_co_u32 v29, null, 0x32370b8f, v40
	v_add_f32_e32 v3, v3, v13
	s_delay_alu instid0(VALU_DEP_4)
	v_sub_f32_e32 v13, v31, v30
	v_xor3_b32 v4, v28, v2, v4
	v_mul_f32_e32 v34, 0x3f317217, v33
	v_xor3_b32 v7, v29, v7, v1
	v_add_co_u32 v30, null, 0xed9eba14, v40
	v_add_f32_e32 v13, v3, v13
	v_mad_u64_u32 v[1:2], null, 0xcd9e8d57, v4, 0
	s_delay_alu instid0(VALU_DEP_4) | instskip(NEXT) | instid1(VALU_DEP_3)
	v_mad_u64_u32 v[3:4], null, 0xcd9e8d57, v7, 0
	v_add_f32_e32 v7, v35, v13
	v_fma_f32 v36, 0x3f317217, v33, -v34
	v_add_co_u32 v31, null, 0xa9066899, v40
	v_xor3_b32 v5, v19, v2, v5
	s_delay_alu instid0(VALU_DEP_4)
	v_cndmask_b32_e64 v7, v7, -v32, vcc_lo
	v_cmp_nlt_f32_e32 vcc_lo, 1.0, v32
	v_xor3_b32 v13, v24, v4, v1
	v_fmac_f32_e32 v36, 0x3377d1cf, v33
	v_mad_u64_u32 v[1:2], null, 0xd2511f53, v5, 0
	v_cndmask_b32_e32 v7, 0x7fc00000, v7, vcc_lo
	v_cmp_neq_f32_e32 vcc_lo, 1.0, v32
	s_delay_alu instid0(VALU_DEP_4)
	v_add_f32_e32 v34, v34, v36
	v_mad_u64_u32 v[4:5], null, 0xd2511f53, v13, 0
	v_add_co_u32 v35, null, 0x1fd5c5a3, v40
	v_cndmask_b32_e32 v7, 0xff800000, v7, vcc_lo
	v_cmp_gt_f32_e64 vcc_lo, 0x7f800000, |v33|
	v_xor3_b32 v2, v30, v2, v6
	v_xor3_b32 v5, v31, v5, v1
	s_delay_alu instid0(VALU_DEP_4) | instskip(SKIP_1) | instid1(VALU_DEP_4)
	v_cndmask_b32_e64 v32, v7, -v32, s14
	v_cndmask_b32_e32 v13, v33, v34, vcc_lo
	v_mad_u64_u32 v[6:7], null, 0xcd9e8d57, v2, 0
	s_delay_alu instid0(VALU_DEP_4) | instskip(NEXT) | instid1(VALU_DEP_3)
	v_mad_u64_u32 v[1:2], null, 0xcd9e8d57, v5, 0
	v_div_scale_f32 v45, null, v32, v32, v13
	v_add_co_u32 v34, null, 0x646e171e, v40
	s_delay_alu instid0(VALU_DEP_4) | instskip(NEXT) | instid1(VALU_DEP_3)
	v_xor3_b32 v3, v18, v7, v3
	v_rcp_f32_e32 v46, v45
	s_delay_alu instid0(VALU_DEP_4) | instskip(SKIP_1) | instid1(VALU_DEP_3)
	v_xor3_b32 v5, v25, v2, v6
	v_div_scale_f32 v47, vcc_lo, v13, v32, v13
	v_mad_u64_u32 v[36:37], null, 0xd2511f53, v3, 0
	s_delay_alu instid0(VALU_DEP_3)
	v_mad_u64_u32 v[2:3], null, 0xd2511f53, v5, 0
	v_mad_u64_u32 v[38:39], null, s13, s10, v[0:1]
	s_waitcnt_depctr 0xfff
	v_fma_f32 v6, -v45, v46, 1.0
	s_lshl_b32 s14, s11, 1
	v_xor3_b32 v7, v34, v37, v4
	s_add_i32 s15, s15, s14
	v_xor3_b32 v3, v35, v3, v36
	v_fmac_f32_e32 v46, v6, v46
	v_add_co_u32 v36, null, 0xdb3d7428, v40
	v_mad_u64_u32 v[4:5], null, 0xcd9e8d57, v7, 0
	v_mad_u64_u32 v[6:7], null, s16, s10, v[0:1]
	s_delay_alu instid0(VALU_DEP_4)
	v_mul_f32_e32 v7, v47, v46
	v_mad_u64_u32 v[41:42], null, 0xcd9e8d57, v3, 0
	s_waitcnt lgkmcnt(0)
	v_mul_lo_u32 v37, s12, v12
	v_xor3_b32 v1, v17, v5, v1
	v_fma_f32 v5, -v45, v7, v47
	v_mul_lo_u32 v38, s12, v38
	s_mul_i32 s11, s11, s12
	v_mov_b32_e32 v33, v10
	v_mad_u64_u32 v[43:44], null, 0xd2511f53, v1, 0
	v_fmac_f32_e32 v7, v5, v46
	v_mad_u64_u32 v[39:40], null, s15, s10, v[0:1]
	v_xor3_b32 v3, v26, v42, v4
	v_mov_b32_e32 v42, v11
	s_delay_alu instid0(VALU_DEP_4)
	v_fma_f32 v0, -v45, v7, v47
	v_xor3_b32 v2, v36, v44, v2
	v_mul_lo_u32 v40, s12, v6
	s_mul_i32 s11, s11, s10
	v_mul_lo_u32 v39, s12, v39
	v_div_fmas_f32 v7, v0, v46, v7
	v_mad_u64_u32 v[4:5], null, 0xcd9e8d57, v2, 0
	v_mad_u64_u32 v[0:1], null, 0xd2511f53, v3, 0
	s_delay_alu instid0(VALU_DEP_3) | instskip(SKIP_3) | instid1(VALU_DEP_3)
	v_div_fixup_f32 v2, v7, v32, v13
	s_mul_i32 s10, s8, 3
	s_lshl_b32 s11, s11, 2
	s_mov_b32 s12, 0
	v_xor3_b32 v3, v5, v41, v15
	v_ceil_f32_e32 v2, v2
	s_delay_alu instid0(VALU_DEP_4) | instskip(SKIP_1) | instid1(VALU_DEP_3)
	v_mov_b32_e32 v6, v0
	v_xor3_b32 v5, v1, v43, v16
	v_cvt_i32_f32_e32 v41, v2
	s_branch .LBB4_8
.LBB4_7:                                ;   in Loop: Header=BB4_8 Depth=1
	s_or_b32 exec_lo, exec_lo, s13
	v_add_co_u32 v10, vcc_lo, v10, s9
	v_add_co_ci_u32_e32 v11, vcc_lo, 0, v11, vcc_lo
	v_mov_b32_e32 v3, v12
	s_add_i32 s12, s12, s11
	s_waitcnt_vscnt null, 0x0
	s_delay_alu instid0(VALU_DEP_2)
	v_cmp_le_i64_e32 vcc_lo, s[2:3], v[10:11]
	s_barrier
	v_mov_b32_e32 v6, v3
	v_dual_mov_b32 v5, v2 :: v_dual_mov_b32 v4, v1
	v_mov_b32_e32 v3, v0
	s_or_b32 s0, vcc_lo, s0
	buffer_gl0_inv
	s_and_not1_b32 exec_lo, exec_lo, s0
	s_cbranch_execz .LBB4_26
.LBB4_8:                                ; =>This Inner Loop Header: Depth=1
	v_add_co_u32 v21, vcc_lo, v21, 1
	s_delay_alu instid0(VALU_DEP_1) | instskip(SKIP_2) | instid1(VALU_DEP_1)
	v_cndmask_b32_e64 v0, 0, 1, vcc_lo
	v_add_co_ci_u32_e32 v22, vcc_lo, 0, v22, vcc_lo
	s_mov_b32 s13, exec_lo
	v_cmp_eq_u32_e32 vcc_lo, 0, v22
	s_delay_alu instid0(VALU_DEP_3) | instskip(NEXT) | instid1(VALU_DEP_1)
	v_cndmask_b32_e32 v0, 0, v0, vcc_lo
	v_add_nc_u32_e32 v33, v0, v33
	s_delay_alu instid0(VALU_DEP_1) | instskip(SKIP_2) | instid1(VALU_DEP_2)
	v_cmp_eq_u32_e32 vcc_lo, 0, v33
	v_cndmask_b32_e32 v0, 0, v0, vcc_lo
	v_mad_u64_u32 v[12:13], null, 0xcd9e8d57, v33, 0
	v_add_nc_u32_e32 v42, v0, v42
	v_mad_u64_u32 v[0:1], null, 0xd2511f53, v21, 0
	s_delay_alu instid0(VALU_DEP_3) | instskip(NEXT) | instid1(VALU_DEP_2)
	v_xor3_b32 v7, v13, v8, v22
	v_xor_b32_e32 v1, v1, v9
	s_delay_alu instid0(VALU_DEP_1) | instskip(NEXT) | instid1(VALU_DEP_3)
	v_xor_b32_e32 v13, v42, v1
	v_mad_u64_u32 v[1:2], null, 0xd2511f53, v7, 0
	s_delay_alu instid0(VALU_DEP_2) | instskip(NEXT) | instid1(VALU_DEP_2)
	v_mad_u64_u32 v[43:44], null, 0xcd9e8d57, v13, 0
	v_xor3_b32 v0, v27, v2, v0
	s_delay_alu instid0(VALU_DEP_2) | instskip(NEXT) | instid1(VALU_DEP_2)
	v_xor3_b32 v2, v20, v44, v12
	v_mad_u64_u32 v[12:13], null, 0xcd9e8d57, v0, 0
	s_delay_alu instid0(VALU_DEP_2) | instskip(NEXT) | instid1(VALU_DEP_2)
	v_mad_u64_u32 v[44:45], null, 0xd2511f53, v2, 0
	v_xor3_b32 v2, v23, v13, v43
	s_delay_alu instid0(VALU_DEP_2) | instskip(NEXT) | instid1(VALU_DEP_2)
	v_xor3_b32 v7, v28, v45, v1
	;; [unrolled: 6-line block ×9, first 2 shown]
	v_mov_b32_e32 v2, v7
	v_cmpx_lt_i32_e32 1, v14
	s_xor_b32 s13, exec_lo, s13
	s_cbranch_execnz .LBB4_18
; %bb.9:                                ;   in Loop: Header=BB4_8 Depth=1
	s_and_not1_saveexec_b32 s13, s13
	s_cbranch_execnz .LBB4_23
.LBB4_10:                               ;   in Loop: Header=BB4_8 Depth=1
	s_or_b32 exec_lo, exec_lo, s13
	s_delay_alu instid0(SALU_CYCLE_1)
	s_mov_b32 s13, exec_lo
	v_cmpx_gt_i64_e64 s[4:5], v[10:11]
	s_cbranch_execz .LBB4_12
.LBB4_11:                               ;   in Loop: Header=BB4_8 Depth=1
	v_lshrrev_b32_e32 v4, 11, v4
	s_delay_alu instid0(VALU_DEP_1) | instskip(SKIP_1) | instid1(VALU_DEP_2)
	v_cvt_f64_u32_e32 v[43:44], v4
	v_cvt_f64_u32_e32 v[3:4], v3
	v_ldexp_f64 v[43:44], v[43:44], 32
	s_delay_alu instid0(VALU_DEP_1) | instskip(NEXT) | instid1(VALU_DEP_1)
	v_add_f64 v[3:4], v[43:44], v[3:4]
	v_fma_f64 v[3:4], 0x3ca00000, v[3:4], 0x3ca00000
	s_delay_alu instid0(VALU_DEP_1) | instskip(NEXT) | instid1(VALU_DEP_1)
	v_cvt_f32_f64_e32 v3, v[3:4]
	v_cmp_gt_f32_e32 vcc_lo, 0x800000, v3
	v_cndmask_b32_e64 v4, 1.0, 0x4f800000, vcc_lo
	s_delay_alu instid0(VALU_DEP_1) | instskip(NEXT) | instid1(VALU_DEP_1)
	v_mul_f32_e32 v3, v3, v4
	v_log_f32_e32 v3, v3
	s_waitcnt_depctr 0xfff
	v_mul_f32_e32 v4, 0x3f317217, v3
	s_delay_alu instid0(VALU_DEP_1) | instskip(NEXT) | instid1(VALU_DEP_1)
	v_fma_f32 v7, 0x3f317217, v3, -v4
	v_fmac_f32_e32 v7, 0x3377d1cf, v3
	s_delay_alu instid0(VALU_DEP_1) | instskip(SKIP_2) | instid1(VALU_DEP_3)
	v_add_f32_e32 v4, v4, v7
	v_cndmask_b32_e64 v7, 0, 0x41b17218, vcc_lo
	v_cmp_gt_f32_e64 vcc_lo, 0x7f800000, |v3|
	v_cndmask_b32_e32 v3, v3, v4, vcc_lo
	s_delay_alu instid0(VALU_DEP_1) | instskip(NEXT) | instid1(VALU_DEP_1)
	v_sub_f32_e32 v3, v3, v7
	v_div_scale_f32 v4, null, v32, v32, v3
	s_delay_alu instid0(VALU_DEP_1) | instskip(SKIP_2) | instid1(VALU_DEP_1)
	v_rcp_f32_e32 v7, v4
	s_waitcnt_depctr 0xfff
	v_fma_f32 v13, -v4, v7, 1.0
	v_fmac_f32_e32 v7, v13, v7
	v_div_scale_f32 v13, vcc_lo, v3, v32, v3
	s_delay_alu instid0(VALU_DEP_1) | instskip(NEXT) | instid1(VALU_DEP_1)
	v_mul_f32_e32 v43, v13, v7
	v_fma_f32 v44, -v4, v43, v13
	s_delay_alu instid0(VALU_DEP_1) | instskip(NEXT) | instid1(VALU_DEP_1)
	v_fmac_f32_e32 v43, v44, v7
	v_fma_f32 v4, -v4, v43, v13
	s_delay_alu instid0(VALU_DEP_1) | instskip(SKIP_1) | instid1(VALU_DEP_2)
	v_div_fmas_f32 v4, v4, v7, v43
	v_add_nc_u32_e32 v7, s12, v37
	v_div_fixup_f32 v3, v4, v32, v3
	s_delay_alu instid0(VALU_DEP_2) | instskip(NEXT) | instid1(VALU_DEP_2)
	v_ashrrev_i32_e32 v4, 31, v7
	v_ceil_f32_e32 v13, v3
	v_add_co_u32 v3, vcc_lo, s6, v7
	s_delay_alu instid0(VALU_DEP_3) | instskip(NEXT) | instid1(VALU_DEP_3)
	v_add_co_ci_u32_e32 v4, vcc_lo, s7, v4, vcc_lo
	v_cvt_i32_f32_e32 v7, v13
	global_store_b8 v[3:4], v7, off
.LBB4_12:                               ;   in Loop: Header=BB4_8 Depth=1
	s_or_b32 exec_lo, exec_lo, s13
	v_add_co_u32 v3, vcc_lo, s8, v10
	v_add_co_ci_u32_e32 v4, vcc_lo, 0, v11, vcc_lo
	s_mov_b32 s13, exec_lo
	s_delay_alu instid0(VALU_DEP_1)
	v_cmpx_gt_i64_e64 s[4:5], v[3:4]
	s_cbranch_execz .LBB4_14
; %bb.13:                               ;   in Loop: Header=BB4_8 Depth=1
	v_lshrrev_b32_e32 v3, 11, v6
	v_cvt_f64_u32_e32 v[5:6], v5
	s_delay_alu instid0(VALU_DEP_2) | instskip(NEXT) | instid1(VALU_DEP_1)
	v_cvt_f64_u32_e32 v[3:4], v3
	v_ldexp_f64 v[3:4], v[3:4], 32
	s_delay_alu instid0(VALU_DEP_1) | instskip(NEXT) | instid1(VALU_DEP_1)
	v_add_f64 v[3:4], v[3:4], v[5:6]
	v_fma_f64 v[3:4], 0x3ca00000, v[3:4], 0x3ca00000
	s_delay_alu instid0(VALU_DEP_1) | instskip(NEXT) | instid1(VALU_DEP_1)
	v_cvt_f32_f64_e32 v3, v[3:4]
	v_cmp_gt_f32_e32 vcc_lo, 0x800000, v3
	v_cndmask_b32_e64 v4, 1.0, 0x4f800000, vcc_lo
	s_delay_alu instid0(VALU_DEP_1) | instskip(NEXT) | instid1(VALU_DEP_1)
	v_mul_f32_e32 v3, v3, v4
	v_log_f32_e32 v3, v3
	s_waitcnt_depctr 0xfff
	v_mul_f32_e32 v4, 0x3f317217, v3
	s_delay_alu instid0(VALU_DEP_1) | instskip(NEXT) | instid1(VALU_DEP_1)
	v_fma_f32 v5, 0x3f317217, v3, -v4
	v_fmac_f32_e32 v5, 0x3377d1cf, v3
	s_delay_alu instid0(VALU_DEP_1) | instskip(SKIP_2) | instid1(VALU_DEP_3)
	v_add_f32_e32 v4, v4, v5
	v_cndmask_b32_e64 v5, 0, 0x41b17218, vcc_lo
	v_cmp_gt_f32_e64 vcc_lo, 0x7f800000, |v3|
	v_cndmask_b32_e32 v3, v3, v4, vcc_lo
	s_delay_alu instid0(VALU_DEP_1) | instskip(NEXT) | instid1(VALU_DEP_1)
	v_sub_f32_e32 v3, v3, v5
	v_div_scale_f32 v4, null, v32, v32, v3
	s_delay_alu instid0(VALU_DEP_1) | instskip(SKIP_2) | instid1(VALU_DEP_1)
	v_rcp_f32_e32 v5, v4
	s_waitcnt_depctr 0xfff
	v_fma_f32 v6, -v4, v5, 1.0
	v_fmac_f32_e32 v5, v6, v5
	v_div_scale_f32 v6, vcc_lo, v3, v32, v3
	s_delay_alu instid0(VALU_DEP_1) | instskip(NEXT) | instid1(VALU_DEP_1)
	v_mul_f32_e32 v7, v6, v5
	v_fma_f32 v13, -v4, v7, v6
	s_delay_alu instid0(VALU_DEP_1) | instskip(NEXT) | instid1(VALU_DEP_1)
	v_fmac_f32_e32 v7, v13, v5
	v_fma_f32 v4, -v4, v7, v6
	s_delay_alu instid0(VALU_DEP_1) | instskip(SKIP_1) | instid1(VALU_DEP_2)
	v_div_fmas_f32 v4, v4, v5, v7
	v_add_nc_u32_e32 v5, s12, v40
	v_div_fixup_f32 v3, v4, v32, v3
	s_delay_alu instid0(VALU_DEP_2) | instskip(NEXT) | instid1(VALU_DEP_2)
	v_ashrrev_i32_e32 v4, 31, v5
	v_ceil_f32_e32 v6, v3
	v_add_co_u32 v3, vcc_lo, s6, v5
	s_delay_alu instid0(VALU_DEP_3) | instskip(NEXT) | instid1(VALU_DEP_3)
	v_add_co_ci_u32_e32 v4, vcc_lo, s7, v4, vcc_lo
	v_cvt_i32_f32_e32 v5, v6
	global_store_b8 v[3:4], v5, off
.LBB4_14:                               ;   in Loop: Header=BB4_8 Depth=1
	s_or_b32 exec_lo, exec_lo, s13
	v_add_co_u32 v3, vcc_lo, s1, v10
	v_add_co_ci_u32_e32 v4, vcc_lo, 0, v11, vcc_lo
	s_mov_b32 s13, exec_lo
	s_delay_alu instid0(VALU_DEP_1)
	v_cmpx_gt_i64_e64 s[4:5], v[3:4]
	s_cbranch_execz .LBB4_16
; %bb.15:                               ;   in Loop: Header=BB4_8 Depth=1
	v_add_nc_u32_e32 v3, s12, v39
	s_delay_alu instid0(VALU_DEP_1) | instskip(SKIP_1) | instid1(VALU_DEP_2)
	v_ashrrev_i32_e32 v4, 31, v3
	v_add_co_u32 v3, vcc_lo, s6, v3
	v_add_co_ci_u32_e32 v4, vcc_lo, s7, v4, vcc_lo
	global_store_b8 v[3:4], v41, off
.LBB4_16:                               ;   in Loop: Header=BB4_8 Depth=1
	s_or_b32 exec_lo, exec_lo, s13
	v_add_co_u32 v3, vcc_lo, s10, v10
	v_add_co_ci_u32_e32 v4, vcc_lo, 0, v11, vcc_lo
	s_mov_b32 s13, exec_lo
	s_delay_alu instid0(VALU_DEP_1)
	v_cmpx_gt_i64_e64 s[4:5], v[3:4]
	s_cbranch_execz .LBB4_7
; %bb.17:                               ;   in Loop: Header=BB4_8 Depth=1
	v_add_nc_u32_e32 v3, s12, v38
	s_delay_alu instid0(VALU_DEP_1) | instskip(SKIP_1) | instid1(VALU_DEP_2)
	v_ashrrev_i32_e32 v4, 31, v3
	v_add_co_u32 v3, vcc_lo, s6, v3
	v_add_co_ci_u32_e32 v4, vcc_lo, s7, v4, vcc_lo
	global_store_b8 v[3:4], v41, off
	s_branch .LBB4_7
.LBB4_18:                               ;   in Loop: Header=BB4_8 Depth=1
	s_mov_b32 s14, exec_lo
	v_cmpx_lt_i32_e32 2, v14
	s_xor_b32 s14, exec_lo, s14
; %bb.19:                               ;   in Loop: Header=BB4_8 Depth=1
	v_dual_mov_b32 v4, v6 :: v_dual_mov_b32 v5, v0
	v_mov_b32_e32 v6, v1
	s_delay_alu instid0(VALU_DEP_2) | instskip(NEXT) | instid1(VALU_DEP_3)
	v_mov_b32_e32 v3, v4
	v_mov_b32_e32 v4, v5
	s_delay_alu instid0(VALU_DEP_3)
	v_mov_b32_e32 v5, v6
	v_mov_b32_e32 v6, v7
; %bb.20:                               ;   in Loop: Header=BB4_8 Depth=1
	s_and_not1_saveexec_b32 s14, s14
; %bb.21:                               ;   in Loop: Header=BB4_8 Depth=1
	s_delay_alu instid0(VALU_DEP_1)
	v_dual_mov_b32 v3, v5 :: v_dual_mov_b32 v4, v6
	v_dual_mov_b32 v5, v0 :: v_dual_mov_b32 v6, v1
; %bb.22:                               ;   in Loop: Header=BB4_8 Depth=1
	s_or_b32 exec_lo, exec_lo, s14
	s_and_not1_saveexec_b32 s13, s13
	s_cbranch_execz .LBB4_10
.LBB4_23:                               ;   in Loop: Header=BB4_8 Depth=1
	s_mov_b32 s14, exec_lo
	v_cmpx_eq_u32_e32 1, v14
; %bb.24:                               ;   in Loop: Header=BB4_8 Depth=1
	v_dual_mov_b32 v3, v4 :: v_dual_mov_b32 v4, v5
	v_dual_mov_b32 v5, v6 :: v_dual_mov_b32 v6, v0
; %bb.25:                               ;   in Loop: Header=BB4_8 Depth=1
	s_or_b32 exec_lo, exec_lo, s14
	s_delay_alu instid0(SALU_CYCLE_1) | instskip(NEXT) | instid1(SALU_CYCLE_1)
	s_or_b32 exec_lo, exec_lo, s13
	s_mov_b32 s13, exec_lo
	v_cmpx_gt_i64_e64 s[4:5], v[10:11]
	s_cbranch_execnz .LBB4_11
	s_branch .LBB4_12
.LBB4_26:
	s_endpgm
.LBB4_27:
                                        ; implicit-def: $sgpr2_sgpr3
	s_branch .LBB4_4
	.section	.rodata,"a",@progbits
	.p2align	6, 0x0
	.amdhsa_kernel _ZN2at6native12_GLOBAL__N_143distribution_elementwise_grid_stride_kernelIfLi4EZNS0_9templates4cuda21uniform_and_transformIafPNS_17CUDAGeneratorImplEZZZNS4_16geometric_kernelIS7_EEvRNS_18TensorIteratorBaseEdT_ENKUlvE_clEvENKUlvE0_clEvEUlfE_EEvSA_T1_T2_EUlP25hiprandStatePhilox4_32_10E_ZNS1_27distribution_nullary_kernelIaf15HIP_vector_typeIdLj2EES7_SJ_SE_EEvSA_SG_RKT3_T4_EUlifE_EEvlNS_15PhiloxCudaStateESF_SG_
		.amdhsa_group_segment_fixed_size 0
		.amdhsa_private_segment_fixed_size 0
		.amdhsa_kernarg_size 328
		.amdhsa_user_sgpr_count 15
		.amdhsa_user_sgpr_dispatch_ptr 0
		.amdhsa_user_sgpr_queue_ptr 0
		.amdhsa_user_sgpr_kernarg_segment_ptr 1
		.amdhsa_user_sgpr_dispatch_id 0
		.amdhsa_user_sgpr_private_segment_size 0
		.amdhsa_wavefront_size32 1
		.amdhsa_uses_dynamic_stack 0
		.amdhsa_enable_private_segment 0
		.amdhsa_system_sgpr_workgroup_id_x 1
		.amdhsa_system_sgpr_workgroup_id_y 0
		.amdhsa_system_sgpr_workgroup_id_z 0
		.amdhsa_system_sgpr_workgroup_info 0
		.amdhsa_system_vgpr_workitem_id 0
		.amdhsa_next_free_vgpr 48
		.amdhsa_next_free_sgpr 23
		.amdhsa_reserve_vcc 1
		.amdhsa_float_round_mode_32 0
		.amdhsa_float_round_mode_16_64 0
		.amdhsa_float_denorm_mode_32 3
		.amdhsa_float_denorm_mode_16_64 3
		.amdhsa_dx10_clamp 1
		.amdhsa_ieee_mode 1
		.amdhsa_fp16_overflow 0
		.amdhsa_workgroup_processor_mode 1
		.amdhsa_memory_ordered 1
		.amdhsa_forward_progress 0
		.amdhsa_shared_vgpr_count 0
		.amdhsa_exception_fp_ieee_invalid_op 0
		.amdhsa_exception_fp_denorm_src 0
		.amdhsa_exception_fp_ieee_div_zero 0
		.amdhsa_exception_fp_ieee_overflow 0
		.amdhsa_exception_fp_ieee_underflow 0
		.amdhsa_exception_fp_ieee_inexact 0
		.amdhsa_exception_int_div_zero 0
	.end_amdhsa_kernel
	.section	.text._ZN2at6native12_GLOBAL__N_143distribution_elementwise_grid_stride_kernelIfLi4EZNS0_9templates4cuda21uniform_and_transformIafPNS_17CUDAGeneratorImplEZZZNS4_16geometric_kernelIS7_EEvRNS_18TensorIteratorBaseEdT_ENKUlvE_clEvENKUlvE0_clEvEUlfE_EEvSA_T1_T2_EUlP25hiprandStatePhilox4_32_10E_ZNS1_27distribution_nullary_kernelIaf15HIP_vector_typeIdLj2EES7_SJ_SE_EEvSA_SG_RKT3_T4_EUlifE_EEvlNS_15PhiloxCudaStateESF_SG_,"axG",@progbits,_ZN2at6native12_GLOBAL__N_143distribution_elementwise_grid_stride_kernelIfLi4EZNS0_9templates4cuda21uniform_and_transformIafPNS_17CUDAGeneratorImplEZZZNS4_16geometric_kernelIS7_EEvRNS_18TensorIteratorBaseEdT_ENKUlvE_clEvENKUlvE0_clEvEUlfE_EEvSA_T1_T2_EUlP25hiprandStatePhilox4_32_10E_ZNS1_27distribution_nullary_kernelIaf15HIP_vector_typeIdLj2EES7_SJ_SE_EEvSA_SG_RKT3_T4_EUlifE_EEvlNS_15PhiloxCudaStateESF_SG_,comdat
.Lfunc_end4:
	.size	_ZN2at6native12_GLOBAL__N_143distribution_elementwise_grid_stride_kernelIfLi4EZNS0_9templates4cuda21uniform_and_transformIafPNS_17CUDAGeneratorImplEZZZNS4_16geometric_kernelIS7_EEvRNS_18TensorIteratorBaseEdT_ENKUlvE_clEvENKUlvE0_clEvEUlfE_EEvSA_T1_T2_EUlP25hiprandStatePhilox4_32_10E_ZNS1_27distribution_nullary_kernelIaf15HIP_vector_typeIdLj2EES7_SJ_SE_EEvSA_SG_RKT3_T4_EUlifE_EEvlNS_15PhiloxCudaStateESF_SG_, .Lfunc_end4-_ZN2at6native12_GLOBAL__N_143distribution_elementwise_grid_stride_kernelIfLi4EZNS0_9templates4cuda21uniform_and_transformIafPNS_17CUDAGeneratorImplEZZZNS4_16geometric_kernelIS7_EEvRNS_18TensorIteratorBaseEdT_ENKUlvE_clEvENKUlvE0_clEvEUlfE_EEvSA_T1_T2_EUlP25hiprandStatePhilox4_32_10E_ZNS1_27distribution_nullary_kernelIaf15HIP_vector_typeIdLj2EES7_SJ_SE_EEvSA_SG_RKT3_T4_EUlifE_EEvlNS_15PhiloxCudaStateESF_SG_
                                        ; -- End function
	.section	.AMDGPU.csdata,"",@progbits
; Kernel info:
; codeLenInByte = 4180
; NumSgprs: 25
; NumVgprs: 48
; ScratchSize: 0
; MemoryBound: 0
; FloatMode: 240
; IeeeMode: 1
; LDSByteSize: 0 bytes/workgroup (compile time only)
; SGPRBlocks: 3
; VGPRBlocks: 5
; NumSGPRsForWavesPerEU: 25
; NumVGPRsForWavesPerEU: 48
; Occupancy: 16
; WaveLimiterHint : 0
; COMPUTE_PGM_RSRC2:SCRATCH_EN: 0
; COMPUTE_PGM_RSRC2:USER_SGPR: 15
; COMPUTE_PGM_RSRC2:TRAP_HANDLER: 0
; COMPUTE_PGM_RSRC2:TGID_X_EN: 1
; COMPUTE_PGM_RSRC2:TGID_Y_EN: 0
; COMPUTE_PGM_RSRC2:TGID_Z_EN: 0
; COMPUTE_PGM_RSRC2:TIDIG_COMP_CNT: 0
	.section	.text._ZN2at6native12_GLOBAL__N_143distribution_elementwise_grid_stride_kernelIfLi4EZNS0_9templates4cuda21uniform_and_transformIafPNS_17CUDAGeneratorImplEZZZNS4_16geometric_kernelIS7_EEvRNS_18TensorIteratorBaseEdT_ENKUlvE_clEvENKUlvE0_clEvEUlfE_EEvSA_T1_T2_EUlP25hiprandStatePhilox4_32_10E_ZNS1_27distribution_nullary_kernelIaf15HIP_vector_typeIdLj2EES7_SJ_SE_EEvSA_SG_RKT3_T4_EUlifE0_EEvlNS_15PhiloxCudaStateESF_SG_,"axG",@progbits,_ZN2at6native12_GLOBAL__N_143distribution_elementwise_grid_stride_kernelIfLi4EZNS0_9templates4cuda21uniform_and_transformIafPNS_17CUDAGeneratorImplEZZZNS4_16geometric_kernelIS7_EEvRNS_18TensorIteratorBaseEdT_ENKUlvE_clEvENKUlvE0_clEvEUlfE_EEvSA_T1_T2_EUlP25hiprandStatePhilox4_32_10E_ZNS1_27distribution_nullary_kernelIaf15HIP_vector_typeIdLj2EES7_SJ_SE_EEvSA_SG_RKT3_T4_EUlifE0_EEvlNS_15PhiloxCudaStateESF_SG_,comdat
	.globl	_ZN2at6native12_GLOBAL__N_143distribution_elementwise_grid_stride_kernelIfLi4EZNS0_9templates4cuda21uniform_and_transformIafPNS_17CUDAGeneratorImplEZZZNS4_16geometric_kernelIS7_EEvRNS_18TensorIteratorBaseEdT_ENKUlvE_clEvENKUlvE0_clEvEUlfE_EEvSA_T1_T2_EUlP25hiprandStatePhilox4_32_10E_ZNS1_27distribution_nullary_kernelIaf15HIP_vector_typeIdLj2EES7_SJ_SE_EEvSA_SG_RKT3_T4_EUlifE0_EEvlNS_15PhiloxCudaStateESF_SG_ ; -- Begin function _ZN2at6native12_GLOBAL__N_143distribution_elementwise_grid_stride_kernelIfLi4EZNS0_9templates4cuda21uniform_and_transformIafPNS_17CUDAGeneratorImplEZZZNS4_16geometric_kernelIS7_EEvRNS_18TensorIteratorBaseEdT_ENKUlvE_clEvENKUlvE0_clEvEUlfE_EEvSA_T1_T2_EUlP25hiprandStatePhilox4_32_10E_ZNS1_27distribution_nullary_kernelIaf15HIP_vector_typeIdLj2EES7_SJ_SE_EEvSA_SG_RKT3_T4_EUlifE0_EEvlNS_15PhiloxCudaStateESF_SG_
	.p2align	8
	.type	_ZN2at6native12_GLOBAL__N_143distribution_elementwise_grid_stride_kernelIfLi4EZNS0_9templates4cuda21uniform_and_transformIafPNS_17CUDAGeneratorImplEZZZNS4_16geometric_kernelIS7_EEvRNS_18TensorIteratorBaseEdT_ENKUlvE_clEvENKUlvE0_clEvEUlfE_EEvSA_T1_T2_EUlP25hiprandStatePhilox4_32_10E_ZNS1_27distribution_nullary_kernelIaf15HIP_vector_typeIdLj2EES7_SJ_SE_EEvSA_SG_RKT3_T4_EUlifE0_EEvlNS_15PhiloxCudaStateESF_SG_,@function
_ZN2at6native12_GLOBAL__N_143distribution_elementwise_grid_stride_kernelIfLi4EZNS0_9templates4cuda21uniform_and_transformIafPNS_17CUDAGeneratorImplEZZZNS4_16geometric_kernelIS7_EEvRNS_18TensorIteratorBaseEdT_ENKUlvE_clEvENKUlvE0_clEvEUlfE_EEvSA_T1_T2_EUlP25hiprandStatePhilox4_32_10E_ZNS1_27distribution_nullary_kernelIaf15HIP_vector_typeIdLj2EES7_SJ_SE_EEvSA_SG_RKT3_T4_EUlifE0_EEvlNS_15PhiloxCudaStateESF_SG_: ; @_ZN2at6native12_GLOBAL__N_143distribution_elementwise_grid_stride_kernelIfLi4EZNS0_9templates4cuda21uniform_and_transformIafPNS_17CUDAGeneratorImplEZZZNS4_16geometric_kernelIS7_EEvRNS_18TensorIteratorBaseEdT_ENKUlvE_clEvENKUlvE0_clEvEUlfE_EEvSA_T1_T2_EUlP25hiprandStatePhilox4_32_10E_ZNS1_27distribution_nullary_kernelIaf15HIP_vector_typeIdLj2EES7_SJ_SE_EEvSA_SG_RKT3_T4_EUlifE0_EEvlNS_15PhiloxCudaStateESF_SG_
; %bb.0:
	s_clause 0x2
	s_load_b64 s[4:5], s[0:1], 0x10
	s_load_b128 s[16:19], s[0:1], 0x0
	s_load_b32 s2, s[0:1], 0x20
	s_waitcnt lgkmcnt(0)
	v_dual_mov_b32 v2, s4 :: v_dual_mov_b32 v3, s5
	v_dual_mov_b32 v8, s18 :: v_dual_mov_b32 v9, s19
	s_bitcmp0_b32 s2, 0
	s_mov_b32 s2, 0
	s_cbranch_scc1 .LBB5_2
; %bb.1:
	v_dual_mov_b32 v1, s4 :: v_dual_mov_b32 v2, s5
	v_dual_mov_b32 v4, s18 :: v_dual_mov_b32 v5, s19
	s_load_b64 s[4:5], s[0:1], 0x18
	flat_load_b64 v[2:3], v[1:2]
	flat_load_b64 v[8:9], v[4:5]
	s_waitcnt vmcnt(1) lgkmcnt(0)
	v_add_co_u32 v2, vcc_lo, v2, s4
	v_add_co_ci_u32_e32 v3, vcc_lo, s5, v3, vcc_lo
.LBB5_2:
	s_clause 0x1
	s_load_b32 s3, s[0:1], 0x154
	s_load_b32 s4, s[0:1], 0x148
	s_waitcnt lgkmcnt(0)
	s_and_b32 s5, s3, 0xffff
	s_add_u32 s6, s16, -1
	s_mul_i32 s24, s4, s5
	s_addc_u32 s3, s17, -1
	s_lshl_b32 s25, s24, 2
	s_cmp_lg_u64 s[2:3], 0
	s_cbranch_scc0 .LBB5_79
; %bb.3:
	v_cvt_f32_ubyte0_e32 v1, 0
	v_cvt_f32_u32_e32 v4, s25
	s_sub_u32 s8, 0, s25
	s_subb_u32 s9, 0, 0
	s_delay_alu instid0(VALU_DEP_1) | instskip(NEXT) | instid1(VALU_DEP_1)
	v_fmamk_f32 v1, v1, 0x4f800000, v4
	v_rcp_f32_e32 v1, v1
	s_waitcnt_depctr 0xfff
	v_mul_f32_e32 v1, 0x5f7ffffc, v1
	s_delay_alu instid0(VALU_DEP_1) | instskip(NEXT) | instid1(VALU_DEP_1)
	v_mul_f32_e32 v4, 0x2f800000, v1
	v_trunc_f32_e32 v4, v4
	s_delay_alu instid0(VALU_DEP_1) | instskip(SKIP_1) | instid1(VALU_DEP_2)
	v_fmamk_f32 v1, v4, 0xcf800000, v1
	v_cvt_u32_f32_e32 v4, v4
	v_cvt_u32_f32_e32 v1, v1
	s_delay_alu instid0(VALU_DEP_2) | instskip(NEXT) | instid1(VALU_DEP_2)
	v_readfirstlane_b32 s2, v4
	v_readfirstlane_b32 s7, v1
	s_delay_alu instid0(VALU_DEP_2) | instskip(NEXT) | instid1(VALU_DEP_1)
	s_mul_i32 s10, s8, s2
	s_mul_hi_u32 s12, s8, s7
	s_mul_i32 s11, s9, s7
	s_add_i32 s10, s12, s10
	s_mul_i32 s13, s8, s7
	s_add_i32 s10, s10, s11
	s_mul_hi_u32 s12, s7, s13
	s_mul_hi_u32 s14, s2, s13
	s_mul_i32 s11, s2, s13
	s_mul_hi_u32 s13, s7, s10
	s_mul_i32 s7, s7, s10
	s_mul_hi_u32 s18, s2, s10
	s_add_u32 s7, s12, s7
	s_addc_u32 s12, 0, s13
	s_add_u32 s7, s7, s11
	s_mul_i32 s10, s2, s10
	s_addc_u32 s7, s12, s14
	s_addc_u32 s11, s18, 0
	s_add_u32 s7, s7, s10
	s_addc_u32 s10, 0, s11
	v_add_co_u32 v1, s7, v1, s7
	s_delay_alu instid0(VALU_DEP_1) | instskip(SKIP_1) | instid1(VALU_DEP_1)
	s_cmp_lg_u32 s7, 0
	s_addc_u32 s2, s2, s10
	v_readfirstlane_b32 s7, v1
	s_mul_i32 s10, s8, s2
	s_delay_alu instid0(VALU_DEP_1)
	s_mul_hi_u32 s11, s8, s7
	s_mul_i32 s9, s9, s7
	s_add_i32 s10, s11, s10
	s_mul_i32 s8, s8, s7
	s_add_i32 s10, s10, s9
	s_mul_hi_u32 s11, s2, s8
	s_mul_i32 s12, s2, s8
	s_mul_hi_u32 s8, s7, s8
	s_mul_hi_u32 s13, s7, s10
	s_mul_i32 s7, s7, s10
	s_mul_hi_u32 s9, s2, s10
	s_add_u32 s7, s8, s7
	s_addc_u32 s8, 0, s13
	s_add_u32 s7, s7, s12
	s_mul_i32 s10, s2, s10
	s_addc_u32 s7, s8, s11
	s_addc_u32 s8, s9, 0
	s_add_u32 s7, s7, s10
	s_addc_u32 s8, 0, s8
	v_add_co_u32 v1, s7, v1, s7
	s_delay_alu instid0(VALU_DEP_1) | instskip(SKIP_2) | instid1(VALU_DEP_1)
	s_cmp_lg_u32 s7, 0
	s_addc_u32 s7, s2, s8
	s_ashr_i32 s8, s3, 31
	v_readfirstlane_b32 s10, v1
	s_add_u32 s2, s6, s8
	s_mov_b32 s9, s8
	s_addc_u32 s3, s3, s8
	s_delay_alu instid0(SALU_CYCLE_1) | instskip(NEXT) | instid1(SALU_CYCLE_1)
	s_xor_b64 s[2:3], s[2:3], s[8:9]
	s_mul_i32 s12, s2, s7
	s_mul_hi_u32 s13, s2, s10
	s_mul_hi_u32 s11, s2, s7
	s_mul_hi_u32 s18, s3, s10
	s_mul_i32 s10, s3, s10
	s_add_u32 s12, s13, s12
	s_addc_u32 s11, 0, s11
	s_mul_hi_u32 s14, s3, s7
	s_add_u32 s10, s12, s10
	s_mul_i32 s7, s3, s7
	s_addc_u32 s10, s11, s18
	s_addc_u32 s11, s14, 0
	s_add_u32 s7, s10, s7
	s_addc_u32 s10, 0, s11
	s_mul_i32 s12, s25, s7
	s_add_u32 s11, s7, 1
	v_sub_co_u32 v1, s2, s2, s12
	s_mul_hi_u32 s12, s25, s7
	s_addc_u32 s13, s10, 0
	s_mul_i32 s14, s25, s10
	s_delay_alu instid0(VALU_DEP_1)
	v_sub_co_u32 v4, s18, v1, s25
	s_add_u32 s19, s7, 2
	s_addc_u32 s20, s10, 0
	s_add_i32 s12, s12, s14
	s_cmp_lg_u32 s2, 0
	v_readfirstlane_b32 s2, v4
	s_subb_u32 s3, s3, s12
	s_cmp_lg_u32 s18, 0
	s_subb_u32 s12, s3, 0
	s_delay_alu instid0(VALU_DEP_1) | instskip(SKIP_4) | instid1(SALU_CYCLE_1)
	s_cmp_ge_u32 s2, s25
	s_cselect_b32 s2, -1, 0
	s_cmp_eq_u32 s12, 0
	v_readfirstlane_b32 s12, v1
	s_cselect_b32 s2, s2, -1
	s_cmp_lg_u32 s2, 0
	s_cselect_b32 s2, s19, s11
	s_cselect_b32 s11, s20, s13
	s_cmp_ge_u32 s12, s25
	s_cselect_b32 s12, -1, 0
	s_cmp_eq_u32 s3, 0
	s_cselect_b32 s3, s12, -1
	s_delay_alu instid0(SALU_CYCLE_1) | instskip(SKIP_2) | instid1(SALU_CYCLE_1)
	s_cmp_lg_u32 s3, 0
	s_cselect_b32 s3, s11, s10
	s_cselect_b32 s2, s2, s7
	s_xor_b64 s[2:3], s[2:3], s[8:9]
	s_delay_alu instid0(SALU_CYCLE_1)
	s_sub_u32 s2, s2, s8
	s_subb_u32 s3, s3, s8
	s_cbranch_execnz .LBB5_5
.LBB5_4:
	v_cvt_f32_u32_e32 v1, s25
	s_sub_i32 s3, 0, s25
	s_delay_alu instid0(VALU_DEP_1) | instskip(SKIP_2) | instid1(VALU_DEP_1)
	v_rcp_iflag_f32_e32 v1, v1
	s_waitcnt_depctr 0xfff
	v_mul_f32_e32 v1, 0x4f7ffffe, v1
	v_cvt_u32_f32_e32 v1, v1
	s_delay_alu instid0(VALU_DEP_1) | instskip(NEXT) | instid1(VALU_DEP_1)
	v_readfirstlane_b32 s2, v1
	s_mul_i32 s3, s3, s2
	s_delay_alu instid0(SALU_CYCLE_1) | instskip(NEXT) | instid1(SALU_CYCLE_1)
	s_mul_hi_u32 s3, s2, s3
	s_add_i32 s2, s2, s3
	s_delay_alu instid0(SALU_CYCLE_1) | instskip(NEXT) | instid1(SALU_CYCLE_1)
	s_mul_hi_u32 s2, s6, s2
	s_mul_i32 s3, s2, s25
	s_delay_alu instid0(SALU_CYCLE_1)
	s_sub_i32 s3, s6, s3
	s_add_i32 s6, s2, 1
	s_sub_i32 s7, s3, s25
	s_cmp_ge_u32 s3, s25
	s_cselect_b32 s2, s6, s2
	s_cselect_b32 s3, s7, s3
	s_add_i32 s6, s2, 1
	s_cmp_ge_u32 s3, s25
	s_mov_b32 s3, 0
	s_cselect_b32 s2, s6, s2
.LBB5_5:
	v_mov_b32_e32 v1, 0
	s_add_u32 s2, s2, 1
	s_addc_u32 s3, s3, 0
	s_mul_hi_u32 s6, s24, s2
	s_mul_i32 s3, s24, s3
	v_mad_u64_u32 v[10:11], null, s5, s15, v[0:1]
	s_mul_hi_u32 s4, s4, s5
	s_add_i32 s3, s6, s3
	s_mul_i32 s4, s4, s2
	s_mul_i32 s2, s24, s2
	s_add_i32 s3, s3, s4
	s_mov_b32 s4, exec_lo
	s_lshl_b64 s[2:3], s[2:3], 2
	s_delay_alu instid0(SALU_CYCLE_1)
	v_cmpx_gt_i64_e64 s[2:3], v[10:11]
	s_cbranch_execz .LBB5_78
; %bb.6:
	s_load_b128 s[12:15], s[0:1], 0x138
	s_mov_b32 s4, 0x3e9b6dac
	v_alignbit_b32 v22, v3, v2, 2
	v_lshrrev_b32_e32 v23, 2, v3
	v_log_f32_e32 v34, s0
	s_waitcnt vmcnt(0)
	v_add_co_u32 v21, null, 0x9e3779b9, v8
	v_add_co_u32 v24, null, 0x3c6ef372, v8
	;; [unrolled: 1-line block ×7, first 2 shown]
	s_add_u32 s18, s0, 48
	s_waitcnt lgkmcnt(0)
	v_cvt_f32_f64_e32 v7, s[14:15]
	s_load_b64 s[14:15], s[0:1], 0xf4
	s_addc_u32 s19, s1, 0
	s_mov_b32 s26, 0
	s_mul_i32 s33, s24, 3
	s_delay_alu instid0(VALU_DEP_1) | instskip(NEXT) | instid1(VALU_DEP_1)
	v_sub_f32_e32 v4, 1.0, v7
	v_cvt_f64_f32_e32 v[0:1], v4
	s_delay_alu instid0(VALU_DEP_1) | instskip(SKIP_1) | instid1(VALU_DEP_1)
	v_frexp_exp_i32_f64_e32 v0, v[0:1]
	v_frexp_mant_f32_e32 v1, v4
	v_cmp_gt_f32_e32 vcc_lo, 0x3f2aaaab, v1
	v_add_f32_e32 v1, -1.0, v4
	s_delay_alu instid0(VALU_DEP_1) | instskip(NEXT) | instid1(VALU_DEP_1)
	v_sub_f32_e32 v6, v1, v4
	v_add_f32_e32 v6, 1.0, v6
	v_sub_f32_e64 v1, -v7, v1
	s_delay_alu instid0(VALU_DEP_1) | instskip(SKIP_2) | instid1(VALU_DEP_2)
	v_add_f32_e32 v1, v1, v6
	v_subrev_co_ci_u32_e32 v0, vcc_lo, 0, v0, vcc_lo
	v_cmp_eq_f32_e32 vcc_lo, 0xff800000, v7
	v_sub_nc_u32_e32 v5, 0, v0
	s_delay_alu instid0(VALU_DEP_1) | instskip(SKIP_1) | instid1(VALU_DEP_2)
	v_ldexp_f32 v4, v4, v5
	v_ldexp_f32 v1, v1, v5
	v_add_f32_e32 v5, -1.0, v4
	v_add_f32_e32 v12, 1.0, v4
	s_delay_alu instid0(VALU_DEP_1) | instskip(NEXT) | instid1(VALU_DEP_1)
	v_add_f32_e32 v6, -1.0, v12
	v_dual_sub_f32 v6, v4, v6 :: v_dual_add_f32 v13, 1.0, v5
	s_delay_alu instid0(VALU_DEP_1) | instskip(NEXT) | instid1(VALU_DEP_2)
	v_add_f32_e32 v6, v1, v6
	v_sub_f32_e32 v4, v4, v13
	s_delay_alu instid0(VALU_DEP_1) | instskip(NEXT) | instid1(VALU_DEP_1)
	v_add_f32_e32 v1, v1, v4
	v_add_f32_e32 v14, v5, v1
	s_delay_alu instid0(VALU_DEP_1) | instskip(SKIP_1) | instid1(VALU_DEP_1)
	v_sub_f32_e32 v5, v14, v5
	v_add_f32_e32 v13, v12, v6
	v_rcp_f32_e32 v4, v13
	v_sub_f32_e32 v12, v13, v12
	s_waitcnt_depctr 0xfff
	v_mul_f32_e32 v15, v14, v4
	v_sub_f32_e32 v6, v6, v12
	s_delay_alu instid0(VALU_DEP_2) | instskip(NEXT) | instid1(VALU_DEP_1)
	v_mul_f32_e32 v16, v13, v15
	v_fma_f32 v12, v15, v13, -v16
	s_delay_alu instid0(VALU_DEP_1) | instskip(NEXT) | instid1(VALU_DEP_1)
	v_dual_fmac_f32 v12, v15, v6 :: v_dual_sub_f32 v1, v1, v5
	v_add_f32_e32 v17, v16, v12
	s_delay_alu instid0(VALU_DEP_1) | instskip(NEXT) | instid1(VALU_DEP_1)
	v_dual_sub_f32 v5, v17, v16 :: v_dual_sub_f32 v18, v14, v17
	v_dual_sub_f32 v5, v5, v12 :: v_dual_sub_f32 v14, v14, v18
	s_delay_alu instid0(VALU_DEP_1) | instskip(NEXT) | instid1(VALU_DEP_1)
	v_sub_f32_e32 v14, v14, v17
	v_add_f32_e32 v1, v1, v14
	s_delay_alu instid0(VALU_DEP_1) | instskip(NEXT) | instid1(VALU_DEP_1)
	v_add_f32_e32 v1, v5, v1
	v_add_f32_e32 v5, v18, v1
	s_delay_alu instid0(VALU_DEP_1) | instskip(SKIP_2) | instid1(VALU_DEP_3)
	v_mul_f32_e32 v12, v4, v5
	v_sub_f32_e32 v17, v18, v5
	v_add_co_u32 v18, null, 0x5384540f, v8
	v_mul_f32_e32 v14, v13, v12
	s_delay_alu instid0(VALU_DEP_1) | instskip(NEXT) | instid1(VALU_DEP_1)
	v_fma_f32 v13, v12, v13, -v14
	v_fmac_f32_e32 v13, v12, v6
	s_delay_alu instid0(VALU_DEP_1) | instskip(SKIP_1) | instid1(VALU_DEP_2)
	v_add_f32_e32 v6, v14, v13
	v_add_f32_e32 v1, v1, v17
	v_sub_f32_e32 v16, v5, v6
	s_delay_alu instid0(VALU_DEP_1) | instskip(NEXT) | instid1(VALU_DEP_1)
	v_sub_f32_e32 v5, v5, v16
	v_sub_f32_e32 v5, v5, v6
	s_delay_alu instid0(VALU_DEP_1) | instskip(SKIP_1) | instid1(VALU_DEP_1)
	v_add_f32_e32 v1, v1, v5
	v_dual_add_f32 v5, v15, v12 :: v_dual_sub_f32 v14, v6, v14
	v_sub_f32_e32 v6, v14, v13
	s_delay_alu instid0(VALU_DEP_1) | instskip(NEXT) | instid1(VALU_DEP_3)
	v_dual_mov_b32 v14, v9 :: v_dual_add_f32 v1, v6, v1
	v_sub_f32_e32 v6, v5, v15
	s_delay_alu instid0(VALU_DEP_2) | instskip(SKIP_1) | instid1(VALU_DEP_4)
	v_add_co_u32 v37, null, 0xdb3d7428, v14
	v_and_b32_e32 v15, 3, v2
	v_add_f32_e32 v1, v16, v1
	s_delay_alu instid0(VALU_DEP_4) | instskip(NEXT) | instid1(VALU_DEP_2)
	v_sub_f32_e32 v6, v12, v6
	v_mul_f32_e32 v1, v4, v1
	s_delay_alu instid0(VALU_DEP_1) | instskip(NEXT) | instid1(VALU_DEP_1)
	v_add_f32_e32 v1, v6, v1
	v_add_f32_e32 v4, v5, v1
	s_delay_alu instid0(VALU_DEP_1) | instskip(NEXT) | instid1(VALU_DEP_1)
	v_mul_f32_e32 v6, v4, v4
	v_dual_mul_f32 v13, v4, v6 :: v_dual_add_nc_u32 v16, 0x8ff34781, v8
	v_fmaak_f32 v12, s4, v6, 0x3ecc95a3
	s_load_b256 s[4:11], s[0:1], 0x30
	s_waitcnt lgkmcnt(0)
	v_cmp_gt_f32_e64 s11, 0x33800000, |v7|
	s_delay_alu instid0(VALU_DEP_2) | instskip(SKIP_2) | instid1(VALU_DEP_3)
	v_fmaak_f32 v6, v6, v12, 0x3f2aaada
	v_add_nc_u32_e32 v17, 0x96a522ad, v9
	v_ldexp_f32 v12, v4, 1
	v_mul_f32_e32 v6, v13, v6
	v_cvt_f32_i32_e32 v13, v0
	v_sub_f32_e32 v0, v4, v5
	s_delay_alu instid0(VALU_DEP_2) | instskip(NEXT) | instid1(VALU_DEP_1)
	v_dual_add_f32 v5, v12, v6 :: v_dual_mul_f32 v28, 0x3f317218, v13
	v_sub_f32_e32 v4, v5, v12
	s_delay_alu instid0(VALU_DEP_2) | instskip(SKIP_1) | instid1(SALU_CYCLE_1)
	v_fma_f32 v3, 0x3f317218, v13, -v28
	s_add_i32 s20, s4, -1
	s_cmp_gt_u32 s20, 1
	s_delay_alu instid0(VALU_DEP_2) | instskip(NEXT) | instid1(VALU_DEP_2)
	v_sub_f32_e32 v4, v6, v4
	v_fmamk_f32 v6, v13, 0xb102e308, v3
	v_sub_f32_e32 v2, v1, v0
	v_mad_u64_u32 v[0:1], null, 0xcd9e8d57, v10, 0
	s_delay_alu instid0(VALU_DEP_3) | instskip(NEXT) | instid1(VALU_DEP_3)
	v_add_f32_e32 v13, v28, v6
	v_ldexp_f32 v2, v2, 1
	s_delay_alu instid0(VALU_DEP_3) | instskip(NEXT) | instid1(VALU_DEP_2)
	v_xor3_b32 v1, v8, v1, v23
	v_add_f32_e32 v12, v2, v4
	v_mad_u64_u32 v[2:3], null, 0xd2511f53, v22, 0
	v_sub_f32_e32 v32, v13, v28
	v_add_co_u32 v28, null, 0xbb67ae85, v14
	s_delay_alu instid0(VALU_DEP_4) | instskip(NEXT) | instid1(VALU_DEP_4)
	v_add_f32_e32 v29, v5, v12
	v_xor_b32_e32 v30, v3, v9
	v_mad_u64_u32 v[3:4], null, 0xd2511f53, v1, 0
	s_delay_alu instid0(VALU_DEP_3) | instskip(SKIP_1) | instid1(VALU_DEP_4)
	v_add_f32_e32 v31, v13, v29
	v_sub_f32_e32 v5, v29, v5
	v_xor_b32_e32 v30, v30, v11
	s_delay_alu instid0(VALU_DEP_3) | instskip(NEXT) | instid1(VALU_DEP_3)
	v_sub_f32_e32 v1, v31, v13
	v_sub_f32_e32 v12, v12, v5
	s_delay_alu instid0(VALU_DEP_2) | instskip(SKIP_3) | instid1(VALU_DEP_4)
	v_sub_f32_e32 v33, v31, v1
	v_sub_f32_e32 v5, v29, v1
	v_xor3_b32 v29, v28, v4, v2
	v_mad_u64_u32 v[1:2], null, 0xcd9e8d57, v30, 0
	v_sub_f32_e32 v13, v13, v33
	v_add_co_u32 v30, null, 0x76cf5d0a, v14
	s_delay_alu instid0(VALU_DEP_2) | instskip(SKIP_4) | instid1(VALU_DEP_2)
	v_add_f32_e32 v13, v5, v13
	v_mad_u64_u32 v[4:5], null, 0xcd9e8d57, v29, 0
	v_mov_b32_e32 v29, v10
	v_sub_f32_e32 v6, v6, v32
	v_xor3_b32 v2, v21, v2, v0
	v_add_f32_e32 v32, v6, v12
	v_xor3_b32 v35, v24, v5, v1
	s_delay_alu instid0(VALU_DEP_3) | instskip(NEXT) | instid1(VALU_DEP_3)
	v_mad_u64_u32 v[0:1], null, 0xd2511f53, v2, 0
	v_add_f32_e32 v13, v32, v13
	s_delay_alu instid0(VALU_DEP_1) | instskip(NEXT) | instid1(VALU_DEP_1)
	v_dual_sub_f32 v33, v32, v6 :: v_dual_add_f32 v36, v31, v13
	v_sub_f32_e32 v2, v12, v33
	v_sub_f32_e32 v5, v32, v33
	v_xor3_b32 v3, v30, v1, v3
	v_add_co_u32 v33, null, 0xa9066899, v14
	v_sub_f32_e32 v32, v36, v31
	s_delay_alu instid0(VALU_DEP_4) | instskip(SKIP_2) | instid1(VALU_DEP_3)
	v_sub_f32_e32 v12, v6, v5
	v_mad_u64_u32 v[5:6], null, 0xd2511f53, v35, 0
	v_add_co_u32 v31, null, 0x32370b8f, v14
	v_add_f32_e32 v2, v2, v12
	v_dual_sub_f32 v12, v13, v32 :: v_dual_mul_f32 v13, 0x3f317217, v34
	v_add_co_u32 v32, null, 0xed9eba14, v14
	s_delay_alu instid0(VALU_DEP_4) | instskip(NEXT) | instid1(VALU_DEP_3)
	v_xor3_b32 v6, v31, v6, v0
	v_add_f32_e32 v12, v2, v12
	v_mad_u64_u32 v[0:1], null, 0xcd9e8d57, v3, 0
	v_fma_f32 v35, 0x3f317217, v34, -v13
	s_delay_alu instid0(VALU_DEP_4) | instskip(NEXT) | instid1(VALU_DEP_4)
	v_mad_u64_u32 v[2:3], null, 0xcd9e8d57, v6, 0
	v_add_f32_e32 v6, v36, v12
	v_add_co_u32 v36, null, 0x1fd5c5a3, v14
	v_xor3_b32 v4, v20, v1, v4
	v_fmac_f32_e32 v35, 0x3377d1cf, v34
	s_delay_alu instid0(VALU_DEP_4) | instskip(SKIP_3) | instid1(VALU_DEP_4)
	v_cndmask_b32_e64 v6, v6, -v7, vcc_lo
	v_cmp_nlt_f32_e32 vcc_lo, 1.0, v7
	v_xor3_b32 v12, v25, v3, v0
	v_mad_u64_u32 v[0:1], null, 0xd2511f53, v4, 0
	v_dual_add_f32 v13, v13, v35 :: v_dual_cndmask_b32 v6, 0x7fc00000, v6
	v_cmp_neq_f32_e32 vcc_lo, 1.0, v7
	s_delay_alu instid0(VALU_DEP_4) | instskip(SKIP_1) | instid1(VALU_DEP_4)
	v_mad_u64_u32 v[3:4], null, 0xd2511f53, v12, 0
	v_add_co_u32 v35, null, 0x646e171e, v14
	v_cndmask_b32_e32 v6, 0xff800000, v6, vcc_lo
	v_cmp_gt_f32_e64 vcc_lo, 0x7f800000, |v34|
	v_xor3_b32 v1, v32, v1, v5
	v_xor3_b32 v4, v33, v4, v0
	v_cndmask_b32_e32 v40, v34, v13, vcc_lo
	v_cndmask_b32_e64 v34, v6, -v7, s11
	s_delay_alu instid0(VALU_DEP_4) | instskip(NEXT) | instid1(VALU_DEP_4)
	v_mad_u64_u32 v[5:6], null, 0xcd9e8d57, v1, 0
	v_mad_u64_u32 v[0:1], null, 0xcd9e8d57, v4, 0
	s_delay_alu instid0(VALU_DEP_3) | instskip(SKIP_1) | instid1(VALU_DEP_4)
	v_div_scale_f32 v41, null, v34, v34, v40
	v_div_scale_f32 v43, vcc_lo, v40, v34, v40
	v_xor3_b32 v2, v19, v6, v2
	s_delay_alu instid0(VALU_DEP_3) | instskip(NEXT) | instid1(VALU_DEP_4)
	v_rcp_f32_e32 v42, v41
	v_xor3_b32 v4, v26, v1, v5
	s_cselect_b32 s11, -1, 0
	s_cmp_lg_u32 s4, 0
	v_mad_u64_u32 v[6:7], null, 0xd2511f53, v2, 0
	s_delay_alu instid0(VALU_DEP_2)
	v_mad_u64_u32 v[1:2], null, 0xd2511f53, v4, 0
	s_cselect_b32 s27, -1, 0
	s_add_u32 s0, s0, 0xf4
	s_waitcnt_depctr 0xfff
	v_fma_f32 v5, -v41, v42, 1.0
	s_addc_u32 s1, s1, 0
	v_xor3_b32 v7, v35, v7, v3
	s_min_u32 s21, s20, 15
	v_xor3_b32 v2, v36, v2, v6
	v_fmac_f32_e32 v42, v5, v42
	s_cmp_gt_u32 s4, 1
	v_mad_u64_u32 v[3:4], null, 0xcd9e8d57, v7, 0
	s_delay_alu instid0(VALU_DEP_3) | instskip(NEXT) | instid1(VALU_DEP_3)
	v_mad_u64_u32 v[12:13], null, 0xcd9e8d57, v2, 0
	v_mul_f32_e32 v5, v43, v42
	s_cselect_b32 s4, -1, 0
	s_add_i32 s21, s21, 1
	s_lshl_b32 s28, s24, 1
	s_delay_alu instid0(VALU_DEP_3) | instskip(SKIP_1) | instid1(VALU_DEP_4)
	v_xor3_b32 v0, v18, v4, v0
	v_fma_f32 v4, -v41, v5, v43
	v_xor3_b32 v2, v27, v13, v3
	s_and_b32 s29, s21, 3
	s_cmp_lg_u32 s20, 2
	v_mad_u64_u32 v[38:39], null, 0xd2511f53, v0, 0
	v_fmac_f32_e32 v5, v4, v42
	s_cselect_b32 s30, -1, 0
	s_and_b32 s31, s21, 28
	s_cmp_lg_u32 s29, 0
	s_delay_alu instid0(VALU_DEP_1) | instskip(NEXT) | instid1(VALU_DEP_3)
	v_fma_f32 v0, -v41, v5, v43
	v_xor3_b32 v3, v37, v39, v1
	v_mov_b32_e32 v39, v11
	s_cselect_b32 s34, -1, 0
	s_delay_alu instid0(VALU_DEP_3) | instskip(SKIP_2) | instid1(VALU_DEP_3)
	v_div_fmas_f32 v6, v0, v42, v5
	v_mad_u64_u32 v[0:1], null, 0xd2511f53, v2, 0
	v_mad_u64_u32 v[4:5], null, 0xcd9e8d57, v3, 0
	v_div_fixup_f32 v2, v6, v34, v40
	s_delay_alu instid0(VALU_DEP_3) | instskip(NEXT) | instid1(VALU_DEP_2)
	v_mov_b32_e32 v6, v0
	v_ceil_f32_e32 v2, v2
	s_delay_alu instid0(VALU_DEP_4) | instskip(SKIP_1) | instid1(VALU_DEP_3)
	v_xor3_b32 v3, v5, v12, v16
	v_xor3_b32 v5, v1, v38, v17
	v_cvt_i32_f32_e32 v38, v2
	s_branch .LBB5_9
.LBB5_7:                                ;   in Loop: Header=BB5_9 Depth=1
	global_store_b8 v4, v38, s[12:13]
.LBB5_8:                                ;   in Loop: Header=BB5_9 Depth=1
	s_or_b32 exec_lo, exec_lo, s35
	v_add_co_u32 v10, vcc_lo, v10, s25
	v_add_co_ci_u32_e32 v11, vcc_lo, 0, v11, vcc_lo
	v_mov_b32_e32 v3, v12
	s_waitcnt_vscnt null, 0x0
	s_barrier
	s_delay_alu instid0(VALU_DEP_2)
	v_cmp_le_i64_e32 vcc_lo, s[2:3], v[10:11]
	buffer_gl0_inv
	v_mov_b32_e32 v6, v3
	v_dual_mov_b32 v5, v2 :: v_dual_mov_b32 v4, v1
	v_mov_b32_e32 v3, v0
	s_or_b32 s26, vcc_lo, s26
	s_delay_alu instid0(SALU_CYCLE_1)
	s_and_not1_b32 exec_lo, exec_lo, s26
	s_cbranch_execz .LBB5_78
.LBB5_9:                                ; =>This Loop Header: Depth=1
                                        ;     Child Loop BB5_24 Depth 2
                                        ;     Child Loop BB5_29 Depth 2
	;; [unrolled: 1-line block ×8, first 2 shown]
	v_add_co_u32 v22, vcc_lo, v22, 1
	s_delay_alu instid0(VALU_DEP_1) | instskip(SKIP_2) | instid1(VALU_DEP_1)
	v_cndmask_b32_e64 v0, 0, 1, vcc_lo
	v_add_co_ci_u32_e32 v23, vcc_lo, 0, v23, vcc_lo
	s_mov_b32 s20, exec_lo
	v_cmp_eq_u32_e32 vcc_lo, 0, v23
	s_delay_alu instid0(VALU_DEP_3) | instskip(NEXT) | instid1(VALU_DEP_1)
	v_cndmask_b32_e32 v0, 0, v0, vcc_lo
	v_add_nc_u32_e32 v29, v0, v29
	s_delay_alu instid0(VALU_DEP_1) | instskip(SKIP_2) | instid1(VALU_DEP_2)
	v_cmp_eq_u32_e32 vcc_lo, 0, v29
	v_cndmask_b32_e32 v0, 0, v0, vcc_lo
	v_mad_u64_u32 v[12:13], null, 0xcd9e8d57, v29, 0
	v_add_nc_u32_e32 v39, v0, v39
	v_mad_u64_u32 v[0:1], null, 0xd2511f53, v22, 0
	s_delay_alu instid0(VALU_DEP_3) | instskip(NEXT) | instid1(VALU_DEP_2)
	v_xor3_b32 v7, v13, v8, v23
	v_xor_b32_e32 v1, v1, v9
	s_delay_alu instid0(VALU_DEP_1) | instskip(NEXT) | instid1(VALU_DEP_3)
	v_xor_b32_e32 v40, v39, v1
	v_mad_u64_u32 v[1:2], null, 0xd2511f53, v7, 0
	s_delay_alu instid0(VALU_DEP_2) | instskip(NEXT) | instid1(VALU_DEP_2)
	v_mad_u64_u32 v[13:14], null, 0xcd9e8d57, v40, 0
	v_xor3_b32 v0, v28, v2, v0
	s_delay_alu instid0(VALU_DEP_2) | instskip(NEXT) | instid1(VALU_DEP_2)
	v_xor3_b32 v2, v21, v14, v12
	v_mad_u64_u32 v[40:41], null, 0xcd9e8d57, v0, 0
	s_delay_alu instid0(VALU_DEP_2) | instskip(NEXT) | instid1(VALU_DEP_2)
	v_mad_u64_u32 v[42:43], null, 0xd2511f53, v2, 0
	v_xor3_b32 v2, v24, v41, v13
	s_delay_alu instid0(VALU_DEP_2) | instskip(NEXT) | instid1(VALU_DEP_2)
	v_xor3_b32 v7, v30, v43, v1
	;; [unrolled: 6-line block ×9, first 2 shown]
	v_mov_b32_e32 v2, v7
	v_cmpx_lt_i32_e32 1, v15
	s_xor_b32 s20, exec_lo, s20
	s_cbranch_execnz .LBB5_12
; %bb.10:                               ;   in Loop: Header=BB5_9 Depth=1
	s_and_not1_saveexec_b32 s20, s20
	s_cbranch_execnz .LBB5_17
.LBB5_11:                               ;   in Loop: Header=BB5_9 Depth=1
	s_or_b32 exec_lo, exec_lo, s20
	s_delay_alu instid0(SALU_CYCLE_1)
	s_mov_b32 s35, exec_lo
	v_cmpx_gt_i64_e64 s[16:17], v[10:11]
	s_cbranch_execnz .LBB5_20
	s_branch .LBB5_34
.LBB5_12:                               ;   in Loop: Header=BB5_9 Depth=1
	s_mov_b32 s21, exec_lo
	v_cmpx_lt_i32_e32 2, v15
	s_xor_b32 s21, exec_lo, s21
; %bb.13:                               ;   in Loop: Header=BB5_9 Depth=1
	v_dual_mov_b32 v4, v6 :: v_dual_mov_b32 v5, v0
	v_mov_b32_e32 v6, v1
	s_delay_alu instid0(VALU_DEP_2) | instskip(NEXT) | instid1(VALU_DEP_3)
	v_mov_b32_e32 v3, v4
	v_mov_b32_e32 v4, v5
	s_delay_alu instid0(VALU_DEP_3)
	v_mov_b32_e32 v5, v6
	v_mov_b32_e32 v6, v7
; %bb.14:                               ;   in Loop: Header=BB5_9 Depth=1
	s_and_not1_saveexec_b32 s21, s21
; %bb.15:                               ;   in Loop: Header=BB5_9 Depth=1
	s_delay_alu instid0(VALU_DEP_1)
	v_dual_mov_b32 v3, v5 :: v_dual_mov_b32 v4, v6
	v_dual_mov_b32 v5, v0 :: v_dual_mov_b32 v6, v1
; %bb.16:                               ;   in Loop: Header=BB5_9 Depth=1
	s_or_b32 exec_lo, exec_lo, s21
	s_and_not1_saveexec_b32 s20, s20
	s_cbranch_execz .LBB5_11
.LBB5_17:                               ;   in Loop: Header=BB5_9 Depth=1
	s_mov_b32 s21, exec_lo
	v_cmpx_eq_u32_e32 1, v15
; %bb.18:                               ;   in Loop: Header=BB5_9 Depth=1
	v_dual_mov_b32 v3, v4 :: v_dual_mov_b32 v4, v5
	v_dual_mov_b32 v5, v6 :: v_dual_mov_b32 v6, v0
; %bb.19:                               ;   in Loop: Header=BB5_9 Depth=1
	s_or_b32 exec_lo, exec_lo, s21
	s_delay_alu instid0(SALU_CYCLE_1) | instskip(NEXT) | instid1(SALU_CYCLE_1)
	s_or_b32 exec_lo, exec_lo, s20
	s_mov_b32 s35, exec_lo
	v_cmpx_gt_i64_e64 s[16:17], v[10:11]
	s_cbranch_execz .LBB5_34
.LBB5_20:                               ;   in Loop: Header=BB5_9 Depth=1
	s_and_not1_b32 vcc_lo, exec_lo, s11
	s_cbranch_vccnz .LBB5_26
; %bb.21:                               ;   in Loop: Header=BB5_9 Depth=1
	v_mov_b32_e32 v7, 0
	s_and_not1_b32 vcc_lo, exec_lo, s27
	s_cbranch_vccnz .LBB5_30
; %bb.22:                               ;   in Loop: Header=BB5_9 Depth=1
	s_and_not1_b32 vcc_lo, exec_lo, s30
	s_mov_b32 s20, 0
	s_cbranch_vccnz .LBB5_27
; %bb.23:                               ;   in Loop: Header=BB5_9 Depth=1
	v_mov_b32_e32 v7, 0
	v_mov_b32_e32 v13, v10
	s_mov_b32 s36, 0
	s_mov_b64 s[20:21], s[18:19]
	s_mov_b64 s[22:23], s[0:1]
.LBB5_24:                               ;   Parent Loop BB5_9 Depth=1
                                        ; =>  This Inner Loop Header: Depth=2
	s_clause 0x1
	s_load_b256 s[40:47], s[20:21], 0x4
	s_load_b128 s[48:51], s[20:21], 0x24
	s_load_b128 s[52:55], s[22:23], 0x0
	s_add_u32 s20, s20, 48
	s_addc_u32 s21, s21, 0
	s_add_i32 s36, s36, 4
	s_add_u32 s22, s22, 16
	s_addc_u32 s23, s23, 0
	s_cmp_lg_u32 s31, s36
	s_waitcnt lgkmcnt(0)
	v_mul_hi_u32 v14, s41, v13
	s_delay_alu instid0(VALU_DEP_1) | instskip(NEXT) | instid1(VALU_DEP_1)
	v_add_nc_u32_e32 v14, v13, v14
	v_lshrrev_b32_e32 v14, s42, v14
	s_delay_alu instid0(VALU_DEP_1) | instskip(SKIP_1) | instid1(VALU_DEP_2)
	v_mul_hi_u32 v40, s44, v14
	v_mul_lo_u32 v43, v14, s40
	v_add_nc_u32_e32 v40, v14, v40
	s_delay_alu instid0(VALU_DEP_2) | instskip(NEXT) | instid1(VALU_DEP_2)
	v_sub_nc_u32_e32 v43, v13, v43
	v_lshrrev_b32_e32 v40, s45, v40
	s_delay_alu instid0(VALU_DEP_2) | instskip(NEXT) | instid1(VALU_DEP_2)
	v_mul_lo_u32 v43, v43, s52
	v_mul_hi_u32 v41, s47, v40
	v_mul_lo_u32 v44, v40, s43
	s_delay_alu instid0(VALU_DEP_2) | instskip(NEXT) | instid1(VALU_DEP_2)
	v_add_nc_u32_e32 v41, v40, v41
	v_sub_nc_u32_e32 v14, v14, v44
	s_delay_alu instid0(VALU_DEP_2) | instskip(NEXT) | instid1(VALU_DEP_2)
	v_lshrrev_b32_e32 v41, s48, v41
	v_mul_lo_u32 v14, v14, s53
	s_delay_alu instid0(VALU_DEP_2) | instskip(NEXT) | instid1(VALU_DEP_2)
	v_mul_hi_u32 v42, s50, v41
	v_add3_u32 v7, v43, v7, v14
	s_delay_alu instid0(VALU_DEP_2) | instskip(NEXT) | instid1(VALU_DEP_1)
	v_add_nc_u32_e32 v42, v41, v42
	v_lshrrev_b32_e32 v13, s51, v42
	v_mul_lo_u32 v42, v41, s46
	s_delay_alu instid0(VALU_DEP_2) | instskip(NEXT) | instid1(VALU_DEP_2)
	v_mul_lo_u32 v45, v13, s49
	v_sub_nc_u32_e32 v40, v40, v42
	s_delay_alu instid0(VALU_DEP_2) | instskip(NEXT) | instid1(VALU_DEP_2)
	v_sub_nc_u32_e32 v41, v41, v45
	v_mul_lo_u32 v40, v40, s54
	s_delay_alu instid0(VALU_DEP_2) | instskip(NEXT) | instid1(VALU_DEP_1)
	v_mul_lo_u32 v41, v41, s55
	v_add3_u32 v7, v40, v7, v41
	s_cbranch_scc1 .LBB5_24
; %bb.25:                               ;   in Loop: Header=BB5_9 Depth=1
	s_mov_b32 s20, s31
	s_and_not1_b32 vcc_lo, exec_lo, s34
	s_cbranch_vccz .LBB5_28
	s_branch .LBB5_30
.LBB5_26:                               ;   in Loop: Header=BB5_9 Depth=1
                                        ; implicit-def: $vgpr7
	s_branch .LBB5_31
.LBB5_27:                               ;   in Loop: Header=BB5_9 Depth=1
	v_mov_b32_e32 v13, v10
	s_and_not1_b32 vcc_lo, exec_lo, s34
	s_cbranch_vccnz .LBB5_30
.LBB5_28:                               ;   in Loop: Header=BB5_9 Depth=1
	s_lshl_b32 s21, s20, 2
	s_mul_i32 s22, s20, 12
	s_add_u32 s20, s0, s21
	s_addc_u32 s21, s1, 0
	s_add_u32 s22, s18, s22
	s_addc_u32 s23, s19, 0
	s_mov_b32 s36, s29
	.p2align	6
.LBB5_29:                               ;   Parent Loop BB5_9 Depth=1
                                        ; =>  This Inner Loop Header: Depth=2
	s_clause 0x1
	s_load_b64 s[38:39], s[22:23], 0x4
	s_load_b32 s37, s[22:23], 0xc
	s_add_u32 s22, s22, 12
	s_addc_u32 s23, s23, 0
	s_waitcnt lgkmcnt(0)
	v_mul_hi_u32 v14, s39, v13
	s_load_b32 s39, s[20:21], 0x0
	s_add_u32 s20, s20, 4
	s_addc_u32 s21, s21, 0
	s_add_i32 s36, s36, -1
	s_delay_alu instid0(SALU_CYCLE_1) | instskip(NEXT) | instid1(VALU_DEP_1)
	s_cmp_lg_u32 s36, 0
	v_add_nc_u32_e32 v14, v13, v14
	s_delay_alu instid0(VALU_DEP_1) | instskip(NEXT) | instid1(VALU_DEP_1)
	v_lshrrev_b32_e32 v14, s37, v14
	v_mul_lo_u32 v40, v14, s38
	s_delay_alu instid0(VALU_DEP_1) | instskip(SKIP_1) | instid1(VALU_DEP_1)
	v_sub_nc_u32_e32 v13, v13, v40
	s_waitcnt lgkmcnt(0)
	v_mad_u64_u32 v[40:41], null, v13, s39, v[7:8]
	v_mov_b32_e32 v13, v14
	s_delay_alu instid0(VALU_DEP_2)
	v_mov_b32_e32 v7, v40
	s_cbranch_scc1 .LBB5_29
.LBB5_30:                               ;   in Loop: Header=BB5_9 Depth=1
	s_cbranch_execnz .LBB5_33
.LBB5_31:                               ;   in Loop: Header=BB5_9 Depth=1
	v_mul_hi_u32 v7, v10, s6
	s_and_not1_b32 vcc_lo, exec_lo, s4
	s_delay_alu instid0(VALU_DEP_1) | instskip(NEXT) | instid1(VALU_DEP_1)
	v_add_nc_u32_e32 v7, v7, v10
	v_lshrrev_b32_e32 v13, s7, v7
	s_delay_alu instid0(VALU_DEP_1) | instskip(NEXT) | instid1(VALU_DEP_1)
	v_mul_lo_u32 v7, v13, s5
	v_sub_nc_u32_e32 v7, v10, v7
	s_delay_alu instid0(VALU_DEP_1)
	v_mul_lo_u32 v7, v7, s14
	s_cbranch_vccnz .LBB5_33
; %bb.32:                               ;   in Loop: Header=BB5_9 Depth=1
	v_mul_hi_u32 v14, s9, v13
	s_delay_alu instid0(VALU_DEP_1) | instskip(NEXT) | instid1(VALU_DEP_1)
	v_add_nc_u32_e32 v14, v13, v14
	v_lshrrev_b32_e32 v14, s10, v14
	s_delay_alu instid0(VALU_DEP_1) | instskip(NEXT) | instid1(VALU_DEP_1)
	v_mul_lo_u32 v14, v14, s8
	v_sub_nc_u32_e32 v40, v13, v14
	s_delay_alu instid0(VALU_DEP_1) | instskip(NEXT) | instid1(VALU_DEP_1)
	v_mad_u64_u32 v[13:14], null, v40, s15, v[7:8]
	v_mov_b32_e32 v7, v13
.LBB5_33:                               ;   in Loop: Header=BB5_9 Depth=1
	v_lshrrev_b32_e32 v4, 11, v4
	s_delay_alu instid0(VALU_DEP_1) | instskip(SKIP_1) | instid1(VALU_DEP_2)
	v_cvt_f64_u32_e32 v[13:14], v4
	v_cvt_f64_u32_e32 v[3:4], v3
	v_ldexp_f64 v[13:14], v[13:14], 32
	s_delay_alu instid0(VALU_DEP_1) | instskip(NEXT) | instid1(VALU_DEP_1)
	v_add_f64 v[3:4], v[13:14], v[3:4]
	v_fma_f64 v[3:4], 0x3ca00000, v[3:4], 0x3ca00000
	s_delay_alu instid0(VALU_DEP_1) | instskip(NEXT) | instid1(VALU_DEP_1)
	v_cvt_f32_f64_e32 v3, v[3:4]
	v_cmp_gt_f32_e32 vcc_lo, 0x800000, v3
	v_cndmask_b32_e64 v4, 1.0, 0x4f800000, vcc_lo
	s_delay_alu instid0(VALU_DEP_1) | instskip(NEXT) | instid1(VALU_DEP_1)
	v_mul_f32_e32 v3, v3, v4
	v_log_f32_e32 v3, v3
	s_waitcnt_depctr 0xfff
	v_mul_f32_e32 v4, 0x3f317217, v3
	s_delay_alu instid0(VALU_DEP_1) | instskip(NEXT) | instid1(VALU_DEP_1)
	v_fma_f32 v13, 0x3f317217, v3, -v4
	v_fmac_f32_e32 v13, 0x3377d1cf, v3
	s_delay_alu instid0(VALU_DEP_1) | instskip(SKIP_2) | instid1(VALU_DEP_3)
	v_add_f32_e32 v4, v4, v13
	v_cndmask_b32_e64 v13, 0, 0x41b17218, vcc_lo
	v_cmp_gt_f32_e64 vcc_lo, 0x7f800000, |v3|
	v_cndmask_b32_e32 v3, v3, v4, vcc_lo
	s_delay_alu instid0(VALU_DEP_1) | instskip(NEXT) | instid1(VALU_DEP_1)
	v_sub_f32_e32 v3, v3, v13
	v_div_scale_f32 v4, null, v34, v34, v3
	s_delay_alu instid0(VALU_DEP_1) | instskip(SKIP_2) | instid1(VALU_DEP_1)
	v_rcp_f32_e32 v13, v4
	s_waitcnt_depctr 0xfff
	v_fma_f32 v14, -v4, v13, 1.0
	v_fmac_f32_e32 v13, v14, v13
	v_div_scale_f32 v14, vcc_lo, v3, v34, v3
	s_delay_alu instid0(VALU_DEP_1) | instskip(NEXT) | instid1(VALU_DEP_1)
	v_mul_f32_e32 v40, v14, v13
	v_fma_f32 v41, -v4, v40, v14
	s_delay_alu instid0(VALU_DEP_1) | instskip(NEXT) | instid1(VALU_DEP_1)
	v_fmac_f32_e32 v40, v41, v13
	v_fma_f32 v4, -v4, v40, v14
	s_delay_alu instid0(VALU_DEP_1) | instskip(NEXT) | instid1(VALU_DEP_1)
	v_div_fmas_f32 v4, v4, v13, v40
	v_div_fixup_f32 v3, v4, v34, v3
	s_delay_alu instid0(VALU_DEP_1) | instskip(NEXT) | instid1(VALU_DEP_1)
	v_ceil_f32_e32 v3, v3
	v_cvt_i32_f32_e32 v3, v3
	global_store_b8 v7, v3, s[12:13]
.LBB5_34:                               ;   in Loop: Header=BB5_9 Depth=1
	s_or_b32 exec_lo, exec_lo, s35
	v_add_co_u32 v13, vcc_lo, v10, s24
	v_add_co_ci_u32_e32 v14, vcc_lo, 0, v11, vcc_lo
	s_mov_b32 s35, exec_lo
	s_delay_alu instid0(VALU_DEP_1)
	v_cmpx_gt_i64_e64 s[16:17], v[13:14]
	s_cbranch_execz .LBB5_49
; %bb.35:                               ;   in Loop: Header=BB5_9 Depth=1
	s_and_not1_b32 vcc_lo, exec_lo, s11
	s_cbranch_vccnz .LBB5_41
; %bb.36:                               ;   in Loop: Header=BB5_9 Depth=1
	v_mov_b32_e32 v3, 0
	s_and_not1_b32 vcc_lo, exec_lo, s27
	s_cbranch_vccnz .LBB5_45
; %bb.37:                               ;   in Loop: Header=BB5_9 Depth=1
	s_and_not1_b32 vcc_lo, exec_lo, s30
	s_mov_b32 s20, 0
	s_cbranch_vccnz .LBB5_42
; %bb.38:                               ;   in Loop: Header=BB5_9 Depth=1
	v_dual_mov_b32 v3, 0 :: v_dual_mov_b32 v4, v13
	s_mov_b32 s36, 0
	s_mov_b64 s[20:21], s[18:19]
	s_mov_b64 s[22:23], s[0:1]
.LBB5_39:                               ;   Parent Loop BB5_9 Depth=1
                                        ; =>  This Inner Loop Header: Depth=2
	s_clause 0x1
	s_load_b256 s[40:47], s[20:21], 0x4
	s_load_b128 s[48:51], s[20:21], 0x24
	s_load_b128 s[52:55], s[22:23], 0x0
	s_add_u32 s20, s20, 48
	s_addc_u32 s21, s21, 0
	s_add_i32 s36, s36, 4
	s_add_u32 s22, s22, 16
	s_addc_u32 s23, s23, 0
	s_cmp_eq_u32 s31, s36
	s_waitcnt lgkmcnt(0)
	v_mul_hi_u32 v7, s41, v4
	s_delay_alu instid0(VALU_DEP_1) | instskip(NEXT) | instid1(VALU_DEP_1)
	v_add_nc_u32_e32 v7, v4, v7
	v_lshrrev_b32_e32 v7, s42, v7
	s_delay_alu instid0(VALU_DEP_1) | instskip(SKIP_1) | instid1(VALU_DEP_2)
	v_mul_hi_u32 v14, s44, v7
	v_mul_lo_u32 v42, v7, s40
	v_add_nc_u32_e32 v14, v7, v14
	s_delay_alu instid0(VALU_DEP_2) | instskip(NEXT) | instid1(VALU_DEP_2)
	v_sub_nc_u32_e32 v42, v4, v42
	v_lshrrev_b32_e32 v14, s45, v14
	s_delay_alu instid0(VALU_DEP_2) | instskip(NEXT) | instid1(VALU_DEP_2)
	v_mul_lo_u32 v42, v42, s52
	v_mul_hi_u32 v40, s47, v14
	v_mul_lo_u32 v43, v14, s43
	s_delay_alu instid0(VALU_DEP_2) | instskip(NEXT) | instid1(VALU_DEP_2)
	v_add_nc_u32_e32 v40, v14, v40
	v_sub_nc_u32_e32 v7, v7, v43
	s_delay_alu instid0(VALU_DEP_2) | instskip(NEXT) | instid1(VALU_DEP_2)
	v_lshrrev_b32_e32 v40, s48, v40
	v_mul_lo_u32 v7, v7, s53
	s_delay_alu instid0(VALU_DEP_2) | instskip(NEXT) | instid1(VALU_DEP_2)
	v_mul_hi_u32 v41, s50, v40
	v_add3_u32 v3, v42, v3, v7
	s_delay_alu instid0(VALU_DEP_2) | instskip(NEXT) | instid1(VALU_DEP_1)
	v_add_nc_u32_e32 v41, v40, v41
	v_lshrrev_b32_e32 v4, s51, v41
	v_mul_lo_u32 v41, v40, s46
	s_delay_alu instid0(VALU_DEP_2) | instskip(NEXT) | instid1(VALU_DEP_2)
	v_mul_lo_u32 v44, v4, s49
	v_sub_nc_u32_e32 v14, v14, v41
	s_delay_alu instid0(VALU_DEP_2) | instskip(NEXT) | instid1(VALU_DEP_2)
	v_sub_nc_u32_e32 v40, v40, v44
	v_mul_lo_u32 v14, v14, s54
	s_delay_alu instid0(VALU_DEP_2) | instskip(NEXT) | instid1(VALU_DEP_1)
	v_mul_lo_u32 v40, v40, s55
	v_add3_u32 v3, v14, v3, v40
	s_cbranch_scc0 .LBB5_39
; %bb.40:                               ;   in Loop: Header=BB5_9 Depth=1
	s_mov_b32 s20, s31
	s_and_not1_b32 vcc_lo, exec_lo, s34
	s_cbranch_vccz .LBB5_43
	s_branch .LBB5_45
.LBB5_41:                               ;   in Loop: Header=BB5_9 Depth=1
                                        ; implicit-def: $vgpr3
	s_branch .LBB5_46
.LBB5_42:                               ;   in Loop: Header=BB5_9 Depth=1
	v_mov_b32_e32 v4, v13
	s_and_not1_b32 vcc_lo, exec_lo, s34
	s_cbranch_vccnz .LBB5_45
.LBB5_43:                               ;   in Loop: Header=BB5_9 Depth=1
	s_lshl_b32 s21, s20, 2
	s_mul_i32 s22, s20, 12
	s_add_u32 s20, s0, s21
	s_addc_u32 s21, s1, 0
	s_add_u32 s22, s18, s22
	s_addc_u32 s23, s19, 0
	s_mov_b32 s36, s29
	.p2align	6
.LBB5_44:                               ;   Parent Loop BB5_9 Depth=1
                                        ; =>  This Inner Loop Header: Depth=2
	s_clause 0x1
	s_load_b64 s[38:39], s[22:23], 0x4
	s_load_b32 s37, s[22:23], 0xc
	s_add_u32 s22, s22, 12
	s_addc_u32 s23, s23, 0
	s_waitcnt lgkmcnt(0)
	v_mul_hi_u32 v7, s39, v4
	s_load_b32 s39, s[20:21], 0x0
	s_add_u32 s20, s20, 4
	s_addc_u32 s21, s21, 0
	s_add_i32 s36, s36, -1
	s_delay_alu instid0(SALU_CYCLE_1) | instskip(NEXT) | instid1(VALU_DEP_1)
	s_cmp_lg_u32 s36, 0
	v_add_nc_u32_e32 v7, v4, v7
	s_delay_alu instid0(VALU_DEP_1) | instskip(NEXT) | instid1(VALU_DEP_1)
	v_lshrrev_b32_e32 v7, s37, v7
	v_mul_lo_u32 v14, v7, s38
	s_delay_alu instid0(VALU_DEP_1) | instskip(SKIP_1) | instid1(VALU_DEP_1)
	v_sub_nc_u32_e32 v4, v4, v14
	s_waitcnt lgkmcnt(0)
	v_mad_u64_u32 v[40:41], null, v4, s39, v[3:4]
	s_delay_alu instid0(VALU_DEP_1)
	v_dual_mov_b32 v4, v7 :: v_dual_mov_b32 v3, v40
	s_cbranch_scc1 .LBB5_44
.LBB5_45:                               ;   in Loop: Header=BB5_9 Depth=1
	s_cbranch_execnz .LBB5_48
.LBB5_46:                               ;   in Loop: Header=BB5_9 Depth=1
	v_mul_hi_u32 v3, v13, s6
	s_and_not1_b32 vcc_lo, exec_lo, s4
	s_delay_alu instid0(VALU_DEP_1) | instskip(NEXT) | instid1(VALU_DEP_1)
	v_add_nc_u32_e32 v3, v3, v13
	v_lshrrev_b32_e32 v4, s7, v3
	s_delay_alu instid0(VALU_DEP_1) | instskip(NEXT) | instid1(VALU_DEP_1)
	v_mul_lo_u32 v3, v4, s5
	v_sub_nc_u32_e32 v3, v13, v3
	s_delay_alu instid0(VALU_DEP_1)
	v_mul_lo_u32 v3, v3, s14
	s_cbranch_vccnz .LBB5_48
; %bb.47:                               ;   in Loop: Header=BB5_9 Depth=1
	v_mul_hi_u32 v7, s9, v4
	s_delay_alu instid0(VALU_DEP_1) | instskip(NEXT) | instid1(VALU_DEP_1)
	v_add_nc_u32_e32 v7, v4, v7
	v_lshrrev_b32_e32 v7, s10, v7
	s_delay_alu instid0(VALU_DEP_1) | instskip(NEXT) | instid1(VALU_DEP_1)
	v_mul_lo_u32 v7, v7, s8
	v_sub_nc_u32_e32 v4, v4, v7
	s_delay_alu instid0(VALU_DEP_1) | instskip(NEXT) | instid1(VALU_DEP_1)
	v_mad_u64_u32 v[13:14], null, v4, s15, v[3:4]
	v_mov_b32_e32 v3, v13
.LBB5_48:                               ;   in Loop: Header=BB5_9 Depth=1
	v_lshrrev_b32_e32 v4, 11, v6
	s_delay_alu instid0(VALU_DEP_1) | instskip(SKIP_1) | instid1(VALU_DEP_2)
	v_cvt_f64_u32_e32 v[6:7], v4
	v_cvt_f64_u32_e32 v[4:5], v5
	v_ldexp_f64 v[6:7], v[6:7], 32
	s_delay_alu instid0(VALU_DEP_1) | instskip(NEXT) | instid1(VALU_DEP_1)
	v_add_f64 v[4:5], v[6:7], v[4:5]
	v_fma_f64 v[4:5], 0x3ca00000, v[4:5], 0x3ca00000
	s_delay_alu instid0(VALU_DEP_1) | instskip(NEXT) | instid1(VALU_DEP_1)
	v_cvt_f32_f64_e32 v4, v[4:5]
	v_cmp_gt_f32_e32 vcc_lo, 0x800000, v4
	v_cndmask_b32_e64 v5, 1.0, 0x4f800000, vcc_lo
	s_delay_alu instid0(VALU_DEP_1) | instskip(NEXT) | instid1(VALU_DEP_1)
	v_mul_f32_e32 v4, v4, v5
	v_log_f32_e32 v4, v4
	s_waitcnt_depctr 0xfff
	v_mul_f32_e32 v5, 0x3f317217, v4
	s_delay_alu instid0(VALU_DEP_1) | instskip(NEXT) | instid1(VALU_DEP_1)
	v_fma_f32 v6, 0x3f317217, v4, -v5
	v_fmac_f32_e32 v6, 0x3377d1cf, v4
	s_delay_alu instid0(VALU_DEP_1) | instskip(SKIP_2) | instid1(VALU_DEP_3)
	v_add_f32_e32 v5, v5, v6
	v_cndmask_b32_e64 v6, 0, 0x41b17218, vcc_lo
	v_cmp_gt_f32_e64 vcc_lo, 0x7f800000, |v4|
	v_cndmask_b32_e32 v4, v4, v5, vcc_lo
	s_delay_alu instid0(VALU_DEP_1) | instskip(NEXT) | instid1(VALU_DEP_1)
	v_sub_f32_e32 v4, v4, v6
	v_div_scale_f32 v5, null, v34, v34, v4
	s_delay_alu instid0(VALU_DEP_1) | instskip(SKIP_2) | instid1(VALU_DEP_1)
	v_rcp_f32_e32 v6, v5
	s_waitcnt_depctr 0xfff
	v_fma_f32 v7, -v5, v6, 1.0
	v_fmac_f32_e32 v6, v7, v6
	v_div_scale_f32 v7, vcc_lo, v4, v34, v4
	s_delay_alu instid0(VALU_DEP_1) | instskip(NEXT) | instid1(VALU_DEP_1)
	v_mul_f32_e32 v13, v7, v6
	v_fma_f32 v14, -v5, v13, v7
	s_delay_alu instid0(VALU_DEP_1) | instskip(NEXT) | instid1(VALU_DEP_1)
	v_fmac_f32_e32 v13, v14, v6
	v_fma_f32 v5, -v5, v13, v7
	s_delay_alu instid0(VALU_DEP_1) | instskip(NEXT) | instid1(VALU_DEP_1)
	v_div_fmas_f32 v5, v5, v6, v13
	v_div_fixup_f32 v4, v5, v34, v4
	s_delay_alu instid0(VALU_DEP_1) | instskip(NEXT) | instid1(VALU_DEP_1)
	v_ceil_f32_e32 v4, v4
	v_cvt_i32_f32_e32 v4, v4
	global_store_b8 v3, v4, s[12:13]
.LBB5_49:                               ;   in Loop: Header=BB5_9 Depth=1
	s_or_b32 exec_lo, exec_lo, s35
	v_add_co_u32 v3, vcc_lo, v10, s28
	v_add_co_ci_u32_e32 v4, vcc_lo, 0, v11, vcc_lo
	s_mov_b32 s35, exec_lo
	s_delay_alu instid0(VALU_DEP_1)
	v_cmpx_gt_i64_e64 s[16:17], v[3:4]
	s_cbranch_execz .LBB5_64
; %bb.50:                               ;   in Loop: Header=BB5_9 Depth=1
	s_and_not1_b32 vcc_lo, exec_lo, s11
	s_cbranch_vccnz .LBB5_56
; %bb.51:                               ;   in Loop: Header=BB5_9 Depth=1
	v_mov_b32_e32 v4, 0
	s_and_not1_b32 vcc_lo, exec_lo, s27
	s_cbranch_vccnz .LBB5_60
; %bb.52:                               ;   in Loop: Header=BB5_9 Depth=1
	s_and_not1_b32 vcc_lo, exec_lo, s30
	s_mov_b32 s20, 0
	s_cbranch_vccnz .LBB5_57
; %bb.53:                               ;   in Loop: Header=BB5_9 Depth=1
	v_dual_mov_b32 v4, 0 :: v_dual_mov_b32 v5, v3
	s_mov_b32 s36, 0
	s_mov_b64 s[20:21], s[18:19]
	s_mov_b64 s[22:23], s[0:1]
.LBB5_54:                               ;   Parent Loop BB5_9 Depth=1
                                        ; =>  This Inner Loop Header: Depth=2
	s_clause 0x1
	s_load_b256 s[40:47], s[20:21], 0x4
	s_load_b128 s[48:51], s[20:21], 0x24
	s_load_b128 s[52:55], s[22:23], 0x0
	s_add_u32 s20, s20, 48
	s_addc_u32 s21, s21, 0
	s_add_i32 s36, s36, 4
	s_add_u32 s22, s22, 16
	s_addc_u32 s23, s23, 0
	s_cmp_eq_u32 s31, s36
	s_waitcnt lgkmcnt(0)
	v_mul_hi_u32 v6, s41, v5
	s_delay_alu instid0(VALU_DEP_1) | instskip(NEXT) | instid1(VALU_DEP_1)
	v_add_nc_u32_e32 v6, v5, v6
	v_lshrrev_b32_e32 v6, s42, v6
	s_delay_alu instid0(VALU_DEP_1) | instskip(SKIP_1) | instid1(VALU_DEP_2)
	v_mul_hi_u32 v7, s44, v6
	v_mul_lo_u32 v40, v6, s40
	v_add_nc_u32_e32 v7, v6, v7
	s_delay_alu instid0(VALU_DEP_2) | instskip(NEXT) | instid1(VALU_DEP_2)
	v_sub_nc_u32_e32 v40, v5, v40
	v_lshrrev_b32_e32 v7, s45, v7
	s_delay_alu instid0(VALU_DEP_2) | instskip(NEXT) | instid1(VALU_DEP_2)
	v_mul_lo_u32 v40, v40, s52
	v_mul_hi_u32 v13, s47, v7
	v_mul_lo_u32 v41, v7, s43
	s_delay_alu instid0(VALU_DEP_2) | instskip(NEXT) | instid1(VALU_DEP_2)
	v_add_nc_u32_e32 v13, v7, v13
	v_sub_nc_u32_e32 v6, v6, v41
	s_delay_alu instid0(VALU_DEP_2) | instskip(NEXT) | instid1(VALU_DEP_2)
	v_lshrrev_b32_e32 v13, s48, v13
	v_mul_lo_u32 v6, v6, s53
	s_delay_alu instid0(VALU_DEP_2) | instskip(NEXT) | instid1(VALU_DEP_2)
	v_mul_hi_u32 v14, s50, v13
	v_add3_u32 v4, v40, v4, v6
	s_delay_alu instid0(VALU_DEP_2) | instskip(NEXT) | instid1(VALU_DEP_1)
	v_add_nc_u32_e32 v14, v13, v14
	v_lshrrev_b32_e32 v5, s51, v14
	v_mul_lo_u32 v14, v13, s46
	s_delay_alu instid0(VALU_DEP_2) | instskip(NEXT) | instid1(VALU_DEP_2)
	v_mul_lo_u32 v42, v5, s49
	v_sub_nc_u32_e32 v7, v7, v14
	s_delay_alu instid0(VALU_DEP_2) | instskip(NEXT) | instid1(VALU_DEP_2)
	v_sub_nc_u32_e32 v13, v13, v42
	v_mul_lo_u32 v7, v7, s54
	s_delay_alu instid0(VALU_DEP_2) | instskip(NEXT) | instid1(VALU_DEP_1)
	v_mul_lo_u32 v13, v13, s55
	v_add3_u32 v4, v7, v4, v13
	s_cbranch_scc0 .LBB5_54
; %bb.55:                               ;   in Loop: Header=BB5_9 Depth=1
	s_mov_b32 s20, s31
	s_and_not1_b32 vcc_lo, exec_lo, s34
	s_cbranch_vccz .LBB5_58
	s_branch .LBB5_60
.LBB5_56:                               ;   in Loop: Header=BB5_9 Depth=1
                                        ; implicit-def: $vgpr4
	s_branch .LBB5_61
.LBB5_57:                               ;   in Loop: Header=BB5_9 Depth=1
	v_mov_b32_e32 v5, v3
	s_and_not1_b32 vcc_lo, exec_lo, s34
	s_cbranch_vccnz .LBB5_60
.LBB5_58:                               ;   in Loop: Header=BB5_9 Depth=1
	s_lshl_b32 s21, s20, 2
	s_mul_i32 s22, s20, 12
	s_add_u32 s20, s0, s21
	s_addc_u32 s21, s1, 0
	s_add_u32 s22, s18, s22
	s_addc_u32 s23, s19, 0
	s_mov_b32 s36, s29
	.p2align	6
.LBB5_59:                               ;   Parent Loop BB5_9 Depth=1
                                        ; =>  This Inner Loop Header: Depth=2
	s_clause 0x1
	s_load_b64 s[38:39], s[22:23], 0x4
	s_load_b32 s37, s[22:23], 0xc
	s_add_u32 s22, s22, 12
	s_addc_u32 s23, s23, 0
	s_waitcnt lgkmcnt(0)
	v_mul_hi_u32 v6, s39, v5
	s_load_b32 s39, s[20:21], 0x0
	s_add_u32 s20, s20, 4
	s_addc_u32 s21, s21, 0
	s_add_i32 s36, s36, -1
	s_delay_alu instid0(SALU_CYCLE_1) | instskip(NEXT) | instid1(VALU_DEP_1)
	s_cmp_lg_u32 s36, 0
	v_add_nc_u32_e32 v6, v5, v6
	s_delay_alu instid0(VALU_DEP_1) | instskip(NEXT) | instid1(VALU_DEP_1)
	v_lshrrev_b32_e32 v13, s37, v6
	v_mul_lo_u32 v6, v13, s38
	s_delay_alu instid0(VALU_DEP_1) | instskip(SKIP_1) | instid1(VALU_DEP_1)
	v_sub_nc_u32_e32 v5, v5, v6
	s_waitcnt lgkmcnt(0)
	v_mad_u64_u32 v[6:7], null, v5, s39, v[4:5]
	s_delay_alu instid0(VALU_DEP_1)
	v_dual_mov_b32 v5, v13 :: v_dual_mov_b32 v4, v6
	s_cbranch_scc1 .LBB5_59
.LBB5_60:                               ;   in Loop: Header=BB5_9 Depth=1
	s_cbranch_execnz .LBB5_63
.LBB5_61:                               ;   in Loop: Header=BB5_9 Depth=1
	v_mul_hi_u32 v4, v3, s6
	s_and_not1_b32 vcc_lo, exec_lo, s4
	s_delay_alu instid0(VALU_DEP_1) | instskip(NEXT) | instid1(VALU_DEP_1)
	v_add_nc_u32_e32 v4, v4, v3
	v_lshrrev_b32_e32 v5, s7, v4
	s_delay_alu instid0(VALU_DEP_1) | instskip(NEXT) | instid1(VALU_DEP_1)
	v_mul_lo_u32 v4, v5, s5
	v_sub_nc_u32_e32 v3, v3, v4
	s_delay_alu instid0(VALU_DEP_1)
	v_mul_lo_u32 v4, v3, s14
	s_cbranch_vccnz .LBB5_63
; %bb.62:                               ;   in Loop: Header=BB5_9 Depth=1
	v_mul_hi_u32 v3, s9, v5
	s_delay_alu instid0(VALU_DEP_1) | instskip(NEXT) | instid1(VALU_DEP_1)
	v_add_nc_u32_e32 v3, v5, v3
	v_lshrrev_b32_e32 v3, s10, v3
	s_delay_alu instid0(VALU_DEP_1) | instskip(NEXT) | instid1(VALU_DEP_1)
	v_mul_lo_u32 v3, v3, s8
	v_sub_nc_u32_e32 v3, v5, v3
	s_delay_alu instid0(VALU_DEP_1) | instskip(NEXT) | instid1(VALU_DEP_1)
	v_mad_u64_u32 v[5:6], null, v3, s15, v[4:5]
	v_mov_b32_e32 v4, v5
.LBB5_63:                               ;   in Loop: Header=BB5_9 Depth=1
	global_store_b8 v4, v38, s[12:13]
.LBB5_64:                               ;   in Loop: Header=BB5_9 Depth=1
	s_or_b32 exec_lo, exec_lo, s35
	v_add_co_u32 v3, vcc_lo, v10, s33
	v_add_co_ci_u32_e32 v4, vcc_lo, 0, v11, vcc_lo
	s_mov_b32 s35, exec_lo
	s_delay_alu instid0(VALU_DEP_1)
	v_cmpx_gt_i64_e64 s[16:17], v[3:4]
	s_cbranch_execz .LBB5_8
; %bb.65:                               ;   in Loop: Header=BB5_9 Depth=1
	s_and_not1_b32 vcc_lo, exec_lo, s11
	s_cbranch_vccnz .LBB5_71
; %bb.66:                               ;   in Loop: Header=BB5_9 Depth=1
	v_mov_b32_e32 v4, 0
	s_and_not1_b32 vcc_lo, exec_lo, s27
	s_cbranch_vccnz .LBB5_75
; %bb.67:                               ;   in Loop: Header=BB5_9 Depth=1
	s_and_not1_b32 vcc_lo, exec_lo, s30
	s_mov_b32 s20, 0
	s_cbranch_vccnz .LBB5_72
; %bb.68:                               ;   in Loop: Header=BB5_9 Depth=1
	v_dual_mov_b32 v4, 0 :: v_dual_mov_b32 v5, v3
	s_mov_b32 s36, 0
	s_mov_b64 s[20:21], s[18:19]
	s_mov_b64 s[22:23], s[0:1]
.LBB5_69:                               ;   Parent Loop BB5_9 Depth=1
                                        ; =>  This Inner Loop Header: Depth=2
	s_clause 0x1
	s_load_b256 s[40:47], s[20:21], 0x4
	s_load_b128 s[48:51], s[20:21], 0x24
	s_load_b128 s[52:55], s[22:23], 0x0
	s_add_u32 s20, s20, 48
	s_addc_u32 s21, s21, 0
	s_add_i32 s36, s36, 4
	s_add_u32 s22, s22, 16
	s_addc_u32 s23, s23, 0
	s_cmp_eq_u32 s31, s36
	s_waitcnt lgkmcnt(0)
	v_mul_hi_u32 v6, s41, v5
	s_delay_alu instid0(VALU_DEP_1) | instskip(NEXT) | instid1(VALU_DEP_1)
	v_add_nc_u32_e32 v6, v5, v6
	v_lshrrev_b32_e32 v6, s42, v6
	s_delay_alu instid0(VALU_DEP_1) | instskip(SKIP_1) | instid1(VALU_DEP_2)
	v_mul_hi_u32 v7, s44, v6
	v_mul_lo_u32 v40, v6, s40
	v_add_nc_u32_e32 v7, v6, v7
	s_delay_alu instid0(VALU_DEP_2) | instskip(NEXT) | instid1(VALU_DEP_2)
	v_sub_nc_u32_e32 v40, v5, v40
	v_lshrrev_b32_e32 v7, s45, v7
	s_delay_alu instid0(VALU_DEP_2) | instskip(NEXT) | instid1(VALU_DEP_2)
	v_mul_lo_u32 v40, v40, s52
	v_mul_hi_u32 v13, s47, v7
	v_mul_lo_u32 v41, v7, s43
	s_delay_alu instid0(VALU_DEP_2) | instskip(NEXT) | instid1(VALU_DEP_2)
	v_add_nc_u32_e32 v13, v7, v13
	v_sub_nc_u32_e32 v6, v6, v41
	s_delay_alu instid0(VALU_DEP_2) | instskip(NEXT) | instid1(VALU_DEP_2)
	v_lshrrev_b32_e32 v13, s48, v13
	v_mul_lo_u32 v6, v6, s53
	s_delay_alu instid0(VALU_DEP_2) | instskip(NEXT) | instid1(VALU_DEP_2)
	v_mul_hi_u32 v14, s50, v13
	v_add3_u32 v4, v40, v4, v6
	s_delay_alu instid0(VALU_DEP_2) | instskip(NEXT) | instid1(VALU_DEP_1)
	v_add_nc_u32_e32 v14, v13, v14
	v_lshrrev_b32_e32 v5, s51, v14
	v_mul_lo_u32 v14, v13, s46
	s_delay_alu instid0(VALU_DEP_2) | instskip(NEXT) | instid1(VALU_DEP_2)
	v_mul_lo_u32 v42, v5, s49
	v_sub_nc_u32_e32 v7, v7, v14
	s_delay_alu instid0(VALU_DEP_2) | instskip(NEXT) | instid1(VALU_DEP_2)
	v_sub_nc_u32_e32 v13, v13, v42
	v_mul_lo_u32 v7, v7, s54
	s_delay_alu instid0(VALU_DEP_2) | instskip(NEXT) | instid1(VALU_DEP_1)
	v_mul_lo_u32 v13, v13, s55
	v_add3_u32 v4, v7, v4, v13
	s_cbranch_scc0 .LBB5_69
; %bb.70:                               ;   in Loop: Header=BB5_9 Depth=1
	s_mov_b32 s20, s31
	s_and_not1_b32 vcc_lo, exec_lo, s34
	s_cbranch_vccz .LBB5_73
	s_branch .LBB5_75
.LBB5_71:                               ;   in Loop: Header=BB5_9 Depth=1
                                        ; implicit-def: $vgpr4
	s_branch .LBB5_76
.LBB5_72:                               ;   in Loop: Header=BB5_9 Depth=1
	v_mov_b32_e32 v5, v3
	s_and_not1_b32 vcc_lo, exec_lo, s34
	s_cbranch_vccnz .LBB5_75
.LBB5_73:                               ;   in Loop: Header=BB5_9 Depth=1
	s_lshl_b32 s21, s20, 2
	s_mul_i32 s22, s20, 12
	s_add_u32 s20, s0, s21
	s_addc_u32 s21, s1, 0
	s_add_u32 s22, s18, s22
	s_addc_u32 s23, s19, 0
	s_mov_b32 s36, s29
	.p2align	6
.LBB5_74:                               ;   Parent Loop BB5_9 Depth=1
                                        ; =>  This Inner Loop Header: Depth=2
	s_clause 0x1
	s_load_b64 s[38:39], s[22:23], 0x4
	s_load_b32 s37, s[22:23], 0xc
	s_add_u32 s22, s22, 12
	s_addc_u32 s23, s23, 0
	s_waitcnt lgkmcnt(0)
	v_mul_hi_u32 v6, s39, v5
	s_load_b32 s39, s[20:21], 0x0
	s_add_u32 s20, s20, 4
	s_addc_u32 s21, s21, 0
	s_add_i32 s36, s36, -1
	s_delay_alu instid0(SALU_CYCLE_1) | instskip(NEXT) | instid1(VALU_DEP_1)
	s_cmp_lg_u32 s36, 0
	v_add_nc_u32_e32 v6, v5, v6
	s_delay_alu instid0(VALU_DEP_1) | instskip(NEXT) | instid1(VALU_DEP_1)
	v_lshrrev_b32_e32 v13, s37, v6
	v_mul_lo_u32 v6, v13, s38
	s_delay_alu instid0(VALU_DEP_1) | instskip(SKIP_1) | instid1(VALU_DEP_1)
	v_sub_nc_u32_e32 v5, v5, v6
	s_waitcnt lgkmcnt(0)
	v_mad_u64_u32 v[6:7], null, v5, s39, v[4:5]
	s_delay_alu instid0(VALU_DEP_1)
	v_dual_mov_b32 v5, v13 :: v_dual_mov_b32 v4, v6
	s_cbranch_scc1 .LBB5_74
.LBB5_75:                               ;   in Loop: Header=BB5_9 Depth=1
	s_cbranch_execnz .LBB5_7
.LBB5_76:                               ;   in Loop: Header=BB5_9 Depth=1
	v_mul_hi_u32 v4, v3, s6
	s_and_not1_b32 vcc_lo, exec_lo, s4
	s_delay_alu instid0(VALU_DEP_1) | instskip(NEXT) | instid1(VALU_DEP_1)
	v_add_nc_u32_e32 v4, v4, v3
	v_lshrrev_b32_e32 v5, s7, v4
	s_delay_alu instid0(VALU_DEP_1) | instskip(NEXT) | instid1(VALU_DEP_1)
	v_mul_lo_u32 v4, v5, s5
	v_sub_nc_u32_e32 v3, v3, v4
	s_delay_alu instid0(VALU_DEP_1)
	v_mul_lo_u32 v4, v3, s14
	s_cbranch_vccnz .LBB5_7
; %bb.77:                               ;   in Loop: Header=BB5_9 Depth=1
	v_mul_hi_u32 v3, s9, v5
	s_delay_alu instid0(VALU_DEP_1) | instskip(NEXT) | instid1(VALU_DEP_1)
	v_add_nc_u32_e32 v3, v5, v3
	v_lshrrev_b32_e32 v3, s10, v3
	s_delay_alu instid0(VALU_DEP_1) | instskip(NEXT) | instid1(VALU_DEP_1)
	v_mul_lo_u32 v3, v3, s8
	v_sub_nc_u32_e32 v3, v5, v3
	s_delay_alu instid0(VALU_DEP_1) | instskip(NEXT) | instid1(VALU_DEP_1)
	v_mad_u64_u32 v[5:6], null, v3, s15, v[4:5]
	v_mov_b32_e32 v4, v5
	s_branch .LBB5_7
.LBB5_78:
	s_endpgm
.LBB5_79:
                                        ; implicit-def: $sgpr2_sgpr3
	s_branch .LBB5_4
	.section	.rodata,"a",@progbits
	.p2align	6, 0x0
	.amdhsa_kernel _ZN2at6native12_GLOBAL__N_143distribution_elementwise_grid_stride_kernelIfLi4EZNS0_9templates4cuda21uniform_and_transformIafPNS_17CUDAGeneratorImplEZZZNS4_16geometric_kernelIS7_EEvRNS_18TensorIteratorBaseEdT_ENKUlvE_clEvENKUlvE0_clEvEUlfE_EEvSA_T1_T2_EUlP25hiprandStatePhilox4_32_10E_ZNS1_27distribution_nullary_kernelIaf15HIP_vector_typeIdLj2EES7_SJ_SE_EEvSA_SG_RKT3_T4_EUlifE0_EEvlNS_15PhiloxCudaStateESF_SG_
		.amdhsa_group_segment_fixed_size 0
		.amdhsa_private_segment_fixed_size 0
		.amdhsa_kernarg_size 584
		.amdhsa_user_sgpr_count 15
		.amdhsa_user_sgpr_dispatch_ptr 0
		.amdhsa_user_sgpr_queue_ptr 0
		.amdhsa_user_sgpr_kernarg_segment_ptr 1
		.amdhsa_user_sgpr_dispatch_id 0
		.amdhsa_user_sgpr_private_segment_size 0
		.amdhsa_wavefront_size32 1
		.amdhsa_uses_dynamic_stack 0
		.amdhsa_enable_private_segment 0
		.amdhsa_system_sgpr_workgroup_id_x 1
		.amdhsa_system_sgpr_workgroup_id_y 0
		.amdhsa_system_sgpr_workgroup_id_z 0
		.amdhsa_system_sgpr_workgroup_info 0
		.amdhsa_system_vgpr_workitem_id 0
		.amdhsa_next_free_vgpr 46
		.amdhsa_next_free_sgpr 56
		.amdhsa_reserve_vcc 1
		.amdhsa_float_round_mode_32 0
		.amdhsa_float_round_mode_16_64 0
		.amdhsa_float_denorm_mode_32 3
		.amdhsa_float_denorm_mode_16_64 3
		.amdhsa_dx10_clamp 1
		.amdhsa_ieee_mode 1
		.amdhsa_fp16_overflow 0
		.amdhsa_workgroup_processor_mode 1
		.amdhsa_memory_ordered 1
		.amdhsa_forward_progress 0
		.amdhsa_shared_vgpr_count 0
		.amdhsa_exception_fp_ieee_invalid_op 0
		.amdhsa_exception_fp_denorm_src 0
		.amdhsa_exception_fp_ieee_div_zero 0
		.amdhsa_exception_fp_ieee_overflow 0
		.amdhsa_exception_fp_ieee_underflow 0
		.amdhsa_exception_fp_ieee_inexact 0
		.amdhsa_exception_int_div_zero 0
	.end_amdhsa_kernel
	.section	.text._ZN2at6native12_GLOBAL__N_143distribution_elementwise_grid_stride_kernelIfLi4EZNS0_9templates4cuda21uniform_and_transformIafPNS_17CUDAGeneratorImplEZZZNS4_16geometric_kernelIS7_EEvRNS_18TensorIteratorBaseEdT_ENKUlvE_clEvENKUlvE0_clEvEUlfE_EEvSA_T1_T2_EUlP25hiprandStatePhilox4_32_10E_ZNS1_27distribution_nullary_kernelIaf15HIP_vector_typeIdLj2EES7_SJ_SE_EEvSA_SG_RKT3_T4_EUlifE0_EEvlNS_15PhiloxCudaStateESF_SG_,"axG",@progbits,_ZN2at6native12_GLOBAL__N_143distribution_elementwise_grid_stride_kernelIfLi4EZNS0_9templates4cuda21uniform_and_transformIafPNS_17CUDAGeneratorImplEZZZNS4_16geometric_kernelIS7_EEvRNS_18TensorIteratorBaseEdT_ENKUlvE_clEvENKUlvE0_clEvEUlfE_EEvSA_T1_T2_EUlP25hiprandStatePhilox4_32_10E_ZNS1_27distribution_nullary_kernelIaf15HIP_vector_typeIdLj2EES7_SJ_SE_EEvSA_SG_RKT3_T4_EUlifE0_EEvlNS_15PhiloxCudaStateESF_SG_,comdat
.Lfunc_end5:
	.size	_ZN2at6native12_GLOBAL__N_143distribution_elementwise_grid_stride_kernelIfLi4EZNS0_9templates4cuda21uniform_and_transformIafPNS_17CUDAGeneratorImplEZZZNS4_16geometric_kernelIS7_EEvRNS_18TensorIteratorBaseEdT_ENKUlvE_clEvENKUlvE0_clEvEUlfE_EEvSA_T1_T2_EUlP25hiprandStatePhilox4_32_10E_ZNS1_27distribution_nullary_kernelIaf15HIP_vector_typeIdLj2EES7_SJ_SE_EEvSA_SG_RKT3_T4_EUlifE0_EEvlNS_15PhiloxCudaStateESF_SG_, .Lfunc_end5-_ZN2at6native12_GLOBAL__N_143distribution_elementwise_grid_stride_kernelIfLi4EZNS0_9templates4cuda21uniform_and_transformIafPNS_17CUDAGeneratorImplEZZZNS4_16geometric_kernelIS7_EEvRNS_18TensorIteratorBaseEdT_ENKUlvE_clEvENKUlvE0_clEvEUlfE_EEvSA_T1_T2_EUlP25hiprandStatePhilox4_32_10E_ZNS1_27distribution_nullary_kernelIaf15HIP_vector_typeIdLj2EES7_SJ_SE_EEvSA_SG_RKT3_T4_EUlifE0_EEvlNS_15PhiloxCudaStateESF_SG_
                                        ; -- End function
	.section	.AMDGPU.csdata,"",@progbits
; Kernel info:
; codeLenInByte = 6516
; NumSgprs: 58
; NumVgprs: 46
; ScratchSize: 0
; MemoryBound: 0
; FloatMode: 240
; IeeeMode: 1
; LDSByteSize: 0 bytes/workgroup (compile time only)
; SGPRBlocks: 7
; VGPRBlocks: 5
; NumSGPRsForWavesPerEU: 58
; NumVGPRsForWavesPerEU: 46
; Occupancy: 16
; WaveLimiterHint : 1
; COMPUTE_PGM_RSRC2:SCRATCH_EN: 0
; COMPUTE_PGM_RSRC2:USER_SGPR: 15
; COMPUTE_PGM_RSRC2:TRAP_HANDLER: 0
; COMPUTE_PGM_RSRC2:TGID_X_EN: 1
; COMPUTE_PGM_RSRC2:TGID_Y_EN: 0
; COMPUTE_PGM_RSRC2:TGID_Z_EN: 0
; COMPUTE_PGM_RSRC2:TIDIG_COMP_CNT: 0
	.section	.text._ZN2at6native12_GLOBAL__N_143distribution_elementwise_grid_stride_kernelIfLi4EZNS0_9templates4cuda21uniform_and_transformIafPNS_17CUDAGeneratorImplEZZZNS4_16geometric_kernelIS7_EEvRNS_18TensorIteratorBaseEdT_ENKUlvE_clEvENKUlvE0_clEvEUlfE_EEvSA_T1_T2_EUlP25hiprandStatePhilox4_32_10E0_ZNS1_27distribution_nullary_kernelIaf15HIP_vector_typeIfLj4EES7_SJ_SE_EEvSA_SG_RKT3_T4_EUlifE_EEvlNS_15PhiloxCudaStateESF_SG_,"axG",@progbits,_ZN2at6native12_GLOBAL__N_143distribution_elementwise_grid_stride_kernelIfLi4EZNS0_9templates4cuda21uniform_and_transformIafPNS_17CUDAGeneratorImplEZZZNS4_16geometric_kernelIS7_EEvRNS_18TensorIteratorBaseEdT_ENKUlvE_clEvENKUlvE0_clEvEUlfE_EEvSA_T1_T2_EUlP25hiprandStatePhilox4_32_10E0_ZNS1_27distribution_nullary_kernelIaf15HIP_vector_typeIfLj4EES7_SJ_SE_EEvSA_SG_RKT3_T4_EUlifE_EEvlNS_15PhiloxCudaStateESF_SG_,comdat
	.globl	_ZN2at6native12_GLOBAL__N_143distribution_elementwise_grid_stride_kernelIfLi4EZNS0_9templates4cuda21uniform_and_transformIafPNS_17CUDAGeneratorImplEZZZNS4_16geometric_kernelIS7_EEvRNS_18TensorIteratorBaseEdT_ENKUlvE_clEvENKUlvE0_clEvEUlfE_EEvSA_T1_T2_EUlP25hiprandStatePhilox4_32_10E0_ZNS1_27distribution_nullary_kernelIaf15HIP_vector_typeIfLj4EES7_SJ_SE_EEvSA_SG_RKT3_T4_EUlifE_EEvlNS_15PhiloxCudaStateESF_SG_ ; -- Begin function _ZN2at6native12_GLOBAL__N_143distribution_elementwise_grid_stride_kernelIfLi4EZNS0_9templates4cuda21uniform_and_transformIafPNS_17CUDAGeneratorImplEZZZNS4_16geometric_kernelIS7_EEvRNS_18TensorIteratorBaseEdT_ENKUlvE_clEvENKUlvE0_clEvEUlfE_EEvSA_T1_T2_EUlP25hiprandStatePhilox4_32_10E0_ZNS1_27distribution_nullary_kernelIaf15HIP_vector_typeIfLj4EES7_SJ_SE_EEvSA_SG_RKT3_T4_EUlifE_EEvlNS_15PhiloxCudaStateESF_SG_
	.p2align	8
	.type	_ZN2at6native12_GLOBAL__N_143distribution_elementwise_grid_stride_kernelIfLi4EZNS0_9templates4cuda21uniform_and_transformIafPNS_17CUDAGeneratorImplEZZZNS4_16geometric_kernelIS7_EEvRNS_18TensorIteratorBaseEdT_ENKUlvE_clEvENKUlvE0_clEvEUlfE_EEvSA_T1_T2_EUlP25hiprandStatePhilox4_32_10E0_ZNS1_27distribution_nullary_kernelIaf15HIP_vector_typeIfLj4EES7_SJ_SE_EEvSA_SG_RKT3_T4_EUlifE_EEvlNS_15PhiloxCudaStateESF_SG_,@function
_ZN2at6native12_GLOBAL__N_143distribution_elementwise_grid_stride_kernelIfLi4EZNS0_9templates4cuda21uniform_and_transformIafPNS_17CUDAGeneratorImplEZZZNS4_16geometric_kernelIS7_EEvRNS_18TensorIteratorBaseEdT_ENKUlvE_clEvENKUlvE0_clEvEUlfE_EEvSA_T1_T2_EUlP25hiprandStatePhilox4_32_10E0_ZNS1_27distribution_nullary_kernelIaf15HIP_vector_typeIfLj4EES7_SJ_SE_EEvSA_SG_RKT3_T4_EUlifE_EEvlNS_15PhiloxCudaStateESF_SG_: ; @_ZN2at6native12_GLOBAL__N_143distribution_elementwise_grid_stride_kernelIfLi4EZNS0_9templates4cuda21uniform_and_transformIafPNS_17CUDAGeneratorImplEZZZNS4_16geometric_kernelIS7_EEvRNS_18TensorIteratorBaseEdT_ENKUlvE_clEvENKUlvE0_clEvEUlfE_EEvSA_T1_T2_EUlP25hiprandStatePhilox4_32_10E0_ZNS1_27distribution_nullary_kernelIaf15HIP_vector_typeIfLj4EES7_SJ_SE_EEvSA_SG_RKT3_T4_EUlifE_EEvlNS_15PhiloxCudaStateESF_SG_
; %bb.0:
	s_clause 0x2
	s_load_b64 s[8:9], s[0:1], 0x10
	s_load_b128 s[4:7], s[0:1], 0x0
	s_load_b32 s2, s[0:1], 0x20
	s_waitcnt lgkmcnt(0)
	v_dual_mov_b32 v2, s8 :: v_dual_mov_b32 v3, s9
	v_dual_mov_b32 v12, s7 :: v_dual_mov_b32 v11, s6
	s_bitcmp0_b32 s2, 0
	s_mov_b32 s2, 0
	s_cbranch_scc1 .LBB6_2
; %bb.1:
	v_dual_mov_b32 v1, s8 :: v_dual_mov_b32 v2, s9
	v_dual_mov_b32 v4, s6 :: v_dual_mov_b32 v5, s7
	s_load_b64 s[6:7], s[0:1], 0x18
	flat_load_b64 v[2:3], v[1:2]
	flat_load_b64 v[11:12], v[4:5]
	s_waitcnt vmcnt(1) lgkmcnt(0)
	v_add_co_u32 v2, vcc_lo, v2, s6
	v_add_co_ci_u32_e32 v3, vcc_lo, s7, v3, vcc_lo
.LBB6_2:
	s_clause 0x1
	s_load_b32 s3, s[0:1], 0x54
	s_load_b32 s11, s[0:1], 0x48
	s_waitcnt lgkmcnt(0)
	s_and_b32 s10, s3, 0xffff
	s_add_u32 s6, s4, -1
	s_mul_i32 s8, s11, s10
	s_addc_u32 s3, s5, -1
	s_lshl_b32 s9, s8, 2
	s_cmp_lg_u64 s[2:3], 0
	s_cbranch_scc0 .LBB6_27
; %bb.3:
	v_cvt_f32_ubyte0_e32 v1, 0
	v_cvt_f32_u32_e32 v4, s9
	s_sub_u32 s12, 0, s9
	s_subb_u32 s13, 0, 0
	s_delay_alu instid0(VALU_DEP_1) | instskip(NEXT) | instid1(VALU_DEP_1)
	v_fmamk_f32 v1, v1, 0x4f800000, v4
	v_rcp_f32_e32 v1, v1
	s_waitcnt_depctr 0xfff
	v_mul_f32_e32 v1, 0x5f7ffffc, v1
	s_delay_alu instid0(VALU_DEP_1) | instskip(NEXT) | instid1(VALU_DEP_1)
	v_mul_f32_e32 v4, 0x2f800000, v1
	v_trunc_f32_e32 v4, v4
	s_delay_alu instid0(VALU_DEP_1) | instskip(SKIP_1) | instid1(VALU_DEP_2)
	v_fmamk_f32 v1, v4, 0xcf800000, v1
	v_cvt_u32_f32_e32 v4, v4
	v_cvt_u32_f32_e32 v1, v1
	s_delay_alu instid0(VALU_DEP_2) | instskip(NEXT) | instid1(VALU_DEP_2)
	v_readfirstlane_b32 s2, v4
	v_readfirstlane_b32 s7, v1
	s_delay_alu instid0(VALU_DEP_2) | instskip(NEXT) | instid1(VALU_DEP_1)
	s_mul_i32 s14, s12, s2
	s_mul_hi_u32 s17, s12, s7
	s_mul_i32 s16, s13, s7
	s_add_i32 s14, s17, s14
	s_mul_i32 s18, s12, s7
	s_add_i32 s14, s14, s16
	s_mul_hi_u32 s17, s7, s18
	s_mul_hi_u32 s19, s2, s18
	s_mul_i32 s16, s2, s18
	s_mul_hi_u32 s18, s7, s14
	s_mul_i32 s7, s7, s14
	s_mul_hi_u32 s20, s2, s14
	s_add_u32 s7, s17, s7
	s_addc_u32 s17, 0, s18
	s_add_u32 s7, s7, s16
	s_mul_i32 s14, s2, s14
	s_addc_u32 s7, s17, s19
	s_addc_u32 s16, s20, 0
	s_add_u32 s7, s7, s14
	s_addc_u32 s14, 0, s16
	v_add_co_u32 v1, s7, v1, s7
	s_delay_alu instid0(VALU_DEP_1) | instskip(SKIP_1) | instid1(VALU_DEP_1)
	s_cmp_lg_u32 s7, 0
	s_addc_u32 s2, s2, s14
	v_readfirstlane_b32 s7, v1
	s_mul_i32 s14, s12, s2
	s_delay_alu instid0(VALU_DEP_1)
	s_mul_hi_u32 s16, s12, s7
	s_mul_i32 s13, s13, s7
	s_add_i32 s14, s16, s14
	s_mul_i32 s12, s12, s7
	s_add_i32 s14, s14, s13
	s_mul_hi_u32 s16, s2, s12
	s_mul_i32 s17, s2, s12
	s_mul_hi_u32 s12, s7, s12
	s_mul_hi_u32 s18, s7, s14
	s_mul_i32 s7, s7, s14
	s_mul_hi_u32 s13, s2, s14
	s_add_u32 s7, s12, s7
	s_addc_u32 s12, 0, s18
	s_add_u32 s7, s7, s17
	s_mul_i32 s14, s2, s14
	s_addc_u32 s7, s12, s16
	s_addc_u32 s12, s13, 0
	s_add_u32 s7, s7, s14
	s_addc_u32 s12, 0, s12
	v_add_co_u32 v1, s7, v1, s7
	s_delay_alu instid0(VALU_DEP_1) | instskip(SKIP_2) | instid1(VALU_DEP_1)
	s_cmp_lg_u32 s7, 0
	s_addc_u32 s7, s2, s12
	s_ashr_i32 s12, s3, 31
	v_readfirstlane_b32 s14, v1
	s_add_u32 s2, s6, s12
	s_mov_b32 s13, s12
	s_addc_u32 s3, s3, s12
	s_delay_alu instid0(SALU_CYCLE_1) | instskip(NEXT) | instid1(SALU_CYCLE_1)
	s_xor_b64 s[2:3], s[2:3], s[12:13]
	s_mul_i32 s17, s2, s7
	s_mul_hi_u32 s18, s2, s14
	s_mul_hi_u32 s16, s2, s7
	;; [unrolled: 1-line block ×3, first 2 shown]
	s_mul_i32 s14, s3, s14
	s_add_u32 s17, s18, s17
	s_addc_u32 s16, 0, s16
	s_mul_hi_u32 s19, s3, s7
	s_add_u32 s14, s17, s14
	s_mul_i32 s7, s3, s7
	s_addc_u32 s14, s16, s20
	s_addc_u32 s16, s19, 0
	s_add_u32 s7, s14, s7
	s_addc_u32 s14, 0, s16
	s_mul_i32 s17, s9, s7
	s_add_u32 s16, s7, 1
	v_sub_co_u32 v1, s2, s2, s17
	s_mul_hi_u32 s17, s9, s7
	s_addc_u32 s18, s14, 0
	s_mul_i32 s19, s9, s14
	s_delay_alu instid0(VALU_DEP_1)
	v_sub_co_u32 v4, s20, v1, s9
	s_add_u32 s21, s7, 2
	s_addc_u32 s22, s14, 0
	s_add_i32 s17, s17, s19
	s_cmp_lg_u32 s2, 0
	v_readfirstlane_b32 s2, v4
	s_subb_u32 s3, s3, s17
	s_cmp_lg_u32 s20, 0
	s_subb_u32 s17, s3, 0
	s_delay_alu instid0(VALU_DEP_1) | instskip(SKIP_4) | instid1(SALU_CYCLE_1)
	s_cmp_ge_u32 s2, s9
	s_cselect_b32 s2, -1, 0
	s_cmp_eq_u32 s17, 0
	v_readfirstlane_b32 s17, v1
	s_cselect_b32 s2, s2, -1
	s_cmp_lg_u32 s2, 0
	s_cselect_b32 s2, s21, s16
	s_cselect_b32 s16, s22, s18
	s_cmp_ge_u32 s17, s9
	s_cselect_b32 s17, -1, 0
	s_cmp_eq_u32 s3, 0
	s_cselect_b32 s3, s17, -1
	s_delay_alu instid0(SALU_CYCLE_1) | instskip(SKIP_2) | instid1(SALU_CYCLE_1)
	s_cmp_lg_u32 s3, 0
	s_cselect_b32 s3, s16, s14
	s_cselect_b32 s2, s2, s7
	s_xor_b64 s[2:3], s[2:3], s[12:13]
	s_delay_alu instid0(SALU_CYCLE_1)
	s_sub_u32 s2, s2, s12
	s_subb_u32 s3, s3, s12
	s_cbranch_execnz .LBB6_5
.LBB6_4:
	v_cvt_f32_u32_e32 v1, s9
	s_sub_i32 s3, 0, s9
	s_delay_alu instid0(VALU_DEP_1) | instskip(SKIP_2) | instid1(VALU_DEP_1)
	v_rcp_iflag_f32_e32 v1, v1
	s_waitcnt_depctr 0xfff
	v_mul_f32_e32 v1, 0x4f7ffffe, v1
	v_cvt_u32_f32_e32 v1, v1
	s_delay_alu instid0(VALU_DEP_1) | instskip(NEXT) | instid1(VALU_DEP_1)
	v_readfirstlane_b32 s2, v1
	s_mul_i32 s3, s3, s2
	s_delay_alu instid0(SALU_CYCLE_1) | instskip(NEXT) | instid1(SALU_CYCLE_1)
	s_mul_hi_u32 s3, s2, s3
	s_add_i32 s2, s2, s3
	s_delay_alu instid0(SALU_CYCLE_1) | instskip(NEXT) | instid1(SALU_CYCLE_1)
	s_mul_hi_u32 s2, s6, s2
	s_mul_i32 s3, s2, s9
	s_delay_alu instid0(SALU_CYCLE_1)
	s_sub_i32 s3, s6, s3
	s_add_i32 s6, s2, 1
	s_sub_i32 s7, s3, s9
	s_cmp_ge_u32 s3, s9
	s_cselect_b32 s2, s6, s2
	s_cselect_b32 s3, s7, s3
	s_add_i32 s6, s2, 1
	s_cmp_ge_u32 s3, s9
	s_mov_b32 s3, 0
	s_cselect_b32 s2, s6, s2
.LBB6_5:
	v_mov_b32_e32 v1, 0
	s_add_u32 s2, s2, 1
	s_addc_u32 s3, s3, 0
	s_mul_hi_u32 s6, s8, s2
	s_mul_i32 s3, s8, s3
	v_mad_u64_u32 v[13:14], null, s10, s15, v[0:1]
	s_mul_hi_u32 s7, s11, s10
	s_add_i32 s3, s6, s3
	s_mul_i32 s7, s7, s2
	s_mul_i32 s2, s8, s2
	s_add_i32 s3, s3, s7
	s_mov_b32 s6, exec_lo
	s_lshl_b64 s[2:3], s[2:3], 2
	s_delay_alu instid0(SALU_CYCLE_1)
	v_cmpx_gt_i64_e64 s[2:3], v[13:14]
	s_cbranch_execz .LBB6_26
; %bb.6:
	s_load_b64 s[6:7], s[0:1], 0x40
	v_alignbit_b32 v24, v3, v2, 2
	v_lshrrev_b32_e32 v25, 2, v3
	s_mov_b32 s13, 0x3e9b6dac
	s_waitcnt vmcnt(0)
	v_add_co_u32 v23, null, 0x9e3779b9, v11
	v_add_co_u32 v22, null, 0xdaa66d2b, v11
	v_add_co_u32 v27, null, 0x78dde6e4, v11
	v_add_co_u32 v21, null, 0x1715609d, v11
	s_mul_i32 s14, s11, 3
	v_add_co_u32 v28, null, 0xb54cda56, v11
	s_add_i32 s14, s15, s14
	v_add_co_u32 v20, null, 0x5384540f, v11
	s_lshl_b32 s16, s11, 1
	v_add_nc_u32_e32 v18, 0x8ff34781, v11
	s_waitcnt lgkmcnt(0)
	v_cvt_f32_f64_e32 v43, s[6:7]
	s_clause 0x1
	s_load_b64 s[6:7], s[0:1], 0x30
	s_load_b32 s12, s[0:1], 0x38
	s_mov_b32 s0, 0
	s_lshl_b32 s1, s8, 1
	v_add_nc_u32_e32 v19, 0x96a522ad, v12
	s_delay_alu instid0(VALU_DEP_2) | instskip(NEXT) | instid1(VALU_DEP_1)
	v_sub_f32_e32 v1, 1.0, v43
	v_cvt_f64_f32_e32 v[4:5], v1
	s_delay_alu instid0(VALU_DEP_1) | instskip(SKIP_1) | instid1(VALU_DEP_1)
	v_frexp_exp_i32_f64_e32 v4, v[4:5]
	v_frexp_mant_f32_e32 v5, v1
	v_cmp_gt_f32_e32 vcc_lo, 0x3f2aaaab, v5
	s_delay_alu instid0(VALU_DEP_3) | instskip(SKIP_2) | instid1(VALU_DEP_3)
	v_subrev_co_ci_u32_e32 v10, vcc_lo, 0, v4, vcc_lo
	v_add_f32_e32 v4, -1.0, v1
	v_cmp_eq_f32_e32 vcc_lo, 0xff800000, v43
	v_sub_nc_u32_e32 v5, 0, v10
	v_cvt_f32_i32_e32 v10, v10
	s_delay_alu instid0(VALU_DEP_4) | instskip(SKIP_1) | instid1(VALU_DEP_3)
	v_sub_f32_e32 v6, v4, v1
	v_sub_f32_e64 v4, -v43, v4
	v_mul_f32_e32 v37, 0x3f317218, v10
	s_delay_alu instid0(VALU_DEP_3) | instskip(SKIP_1) | instid1(VALU_DEP_1)
	v_add_f32_e32 v6, 1.0, v6
	v_ldexp_f32 v1, v1, v5
	v_dual_add_f32 v4, v4, v6 :: v_dual_add_f32 v7, 1.0, v1
	s_delay_alu instid0(VALU_DEP_1) | instskip(NEXT) | instid1(VALU_DEP_2)
	v_ldexp_f32 v4, v4, v5
	v_dual_add_f32 v6, -1.0, v7 :: v_dual_add_f32 v5, -1.0, v1
	s_delay_alu instid0(VALU_DEP_1) | instskip(NEXT) | instid1(VALU_DEP_2)
	v_sub_f32_e32 v6, v1, v6
	v_add_f32_e32 v8, 1.0, v5
	s_delay_alu instid0(VALU_DEP_1) | instskip(NEXT) | instid1(VALU_DEP_1)
	v_sub_f32_e32 v1, v1, v8
	v_add_f32_e32 v1, v4, v1
	s_delay_alu instid0(VALU_DEP_4) | instskip(NEXT) | instid1(VALU_DEP_2)
	v_add_f32_e32 v6, v4, v6
	v_add_f32_e32 v4, v5, v1
	s_delay_alu instid0(VALU_DEP_1) | instskip(NEXT) | instid1(VALU_DEP_1)
	v_sub_f32_e32 v5, v4, v5
	v_dual_sub_f32 v1, v1, v5 :: v_dual_add_f32 v8, v7, v6
	s_delay_alu instid0(VALU_DEP_1) | instskip(SKIP_3) | instid1(VALU_DEP_2)
	v_rcp_f32_e32 v9, v8
	s_waitcnt_depctr 0xfff
	v_mul_f32_e32 v15, v4, v9
	v_sub_f32_e32 v7, v8, v7
	v_mul_f32_e32 v16, v8, v15
	s_delay_alu instid0(VALU_DEP_2) | instskip(NEXT) | instid1(VALU_DEP_2)
	v_sub_f32_e32 v6, v6, v7
	v_fma_f32 v7, v15, v8, -v16
	s_delay_alu instid0(VALU_DEP_1) | instskip(NEXT) | instid1(VALU_DEP_1)
	v_fmac_f32_e32 v7, v15, v6
	v_add_f32_e32 v17, v16, v7
	s_delay_alu instid0(VALU_DEP_1) | instskip(NEXT) | instid1(VALU_DEP_1)
	v_sub_f32_e32 v26, v4, v17
	v_sub_f32_e32 v4, v4, v26
	s_delay_alu instid0(VALU_DEP_1) | instskip(NEXT) | instid1(VALU_DEP_1)
	v_sub_f32_e32 v4, v4, v17
	v_add_f32_e32 v1, v1, v4
	v_sub_f32_e32 v5, v17, v16
	v_and_b32_e32 v17, 3, v2
	s_delay_alu instid0(VALU_DEP_2) | instskip(NEXT) | instid1(VALU_DEP_1)
	v_sub_f32_e32 v5, v5, v7
	v_add_f32_e32 v4, v5, v1
	v_mad_u64_u32 v[1:2], null, 0xcd9e8d57, v13, 0
	s_delay_alu instid0(VALU_DEP_2) | instskip(NEXT) | instid1(VALU_DEP_2)
	v_add_f32_e32 v5, v26, v4
	v_xor3_b32 v2, v11, v2, v25
	s_delay_alu instid0(VALU_DEP_2) | instskip(NEXT) | instid1(VALU_DEP_1)
	v_mul_f32_e32 v7, v9, v5
	v_mul_f32_e32 v16, v8, v7
	v_dual_mov_b32 v38, v12 :: v_dual_sub_f32 v3, v26, v5
	v_add_co_u32 v26, null, 0x3c6ef372, v11
	s_delay_alu instid0(VALU_DEP_3) | instskip(NEXT) | instid1(VALU_DEP_3)
	v_fma_f32 v8, v7, v8, -v16
	v_add_co_u32 v31, null, 0x76cf5d0a, v38
	s_delay_alu instid0(VALU_DEP_4) | instskip(SKIP_1) | instid1(VALU_DEP_4)
	v_add_f32_e32 v29, v4, v3
	v_mad_u64_u32 v[3:4], null, 0xd2511f53, v24, 0
	v_fmac_f32_e32 v8, v7, v6
	v_add_co_u32 v32, null, 0x32370b8f, v38
	v_add_co_u32 v35, null, 0xa9066899, v38
	s_delay_alu instid0(VALU_DEP_3) | instskip(NEXT) | instid1(VALU_DEP_1)
	v_add_f32_e32 v6, v16, v8
	v_sub_f32_e32 v30, v5, v6
	s_delay_alu instid0(VALU_DEP_1) | instskip(NEXT) | instid1(VALU_DEP_1)
	v_dual_sub_f32 v5, v5, v30 :: v_dual_sub_f32 v16, v6, v16
	v_dual_sub_f32 v5, v5, v6 :: v_dual_sub_f32 v6, v16, v8
	v_add_f32_e32 v16, v15, v7
	v_xor_b32_e32 v8, v4, v12
	s_delay_alu instid0(VALU_DEP_3) | instskip(SKIP_1) | instid1(VALU_DEP_3)
	v_add_f32_e32 v5, v29, v5
	v_add_co_u32 v29, null, 0xf1bbcdc8, v11
	v_xor_b32_e32 v8, v8, v14
	s_delay_alu instid0(VALU_DEP_3) | instskip(SKIP_2) | instid1(VALU_DEP_1)
	v_add_f32_e32 v6, v6, v5
	v_mad_u64_u32 v[4:5], null, 0xd2511f53, v2, 0
	v_sub_f32_e32 v2, v16, v15
	v_sub_f32_e32 v7, v7, v2
	s_delay_alu instid0(VALU_DEP_4) | instskip(SKIP_1) | instid1(VALU_DEP_2)
	v_add_f32_e32 v6, v30, v6
	v_add_co_u32 v30, null, 0xbb67ae85, v38
	v_mul_f32_e32 v6, v9, v6
	s_delay_alu instid0(VALU_DEP_2) | instskip(SKIP_1) | instid1(VALU_DEP_3)
	v_xor3_b32 v9, v30, v5, v3
	v_mad_u64_u32 v[2:3], null, 0xcd9e8d57, v8, 0
	v_add_f32_e32 v15, v7, v6
	s_delay_alu instid0(VALU_DEP_3) | instskip(SKIP_1) | instid1(VALU_DEP_3)
	v_mad_u64_u32 v[5:6], null, 0xcd9e8d57, v9, 0
	v_mad_u64_u32 v[7:8], null, s15, s10, v[0:1]
	v_add_f32_e32 v33, v16, v15
	v_xor3_b32 v3, v23, v3, v1
	s_delay_alu instid0(VALU_DEP_4) | instskip(NEXT) | instid1(VALU_DEP_3)
	v_xor3_b32 v6, v26, v6, v2
	v_mul_f32_e32 v34, v33, v33
	s_delay_alu instid0(VALU_DEP_3) | instskip(NEXT) | instid1(VALU_DEP_3)
	v_mad_u64_u32 v[1:2], null, 0xd2511f53, v3, 0
	v_mad_u64_u32 v[8:9], null, 0xd2511f53, v6, 0
	s_delay_alu instid0(VALU_DEP_3)
	v_fmaak_f32 v3, s13, v34, 0x3ecc95a3
	v_mul_f32_e32 v6, v33, v34
	v_sub_f32_e32 v16, v33, v16
	v_xor3_b32 v4, v31, v2, v4
	s_add_i32 s13, s15, s11
	v_fmaak_f32 v3, v34, v3, 0x3f2aaada
	v_ldexp_f32 v34, v33, 1
	v_xor3_b32 v9, v32, v9, v1
	v_mad_u64_u32 v[1:2], null, 0xcd9e8d57, v4, 0
	s_delay_alu instid0(VALU_DEP_4) | instskip(NEXT) | instid1(VALU_DEP_3)
	v_dual_mul_f32 v6, v6, v3 :: v_dual_mov_b32 v33, v13
	v_mad_u64_u32 v[3:4], null, 0xcd9e8d57, v9, 0
	s_delay_alu instid0(VALU_DEP_2) | instskip(SKIP_3) | instid1(VALU_DEP_3)
	v_dual_sub_f32 v9, v15, v16 :: v_dual_add_f32 v36, v34, v6
	v_fma_f32 v16, 0x3f317218, v10, -v37
	v_xor3_b32 v5, v22, v2, v5
	s_add_i32 s15, s15, s16
	v_ldexp_f32 v9, v9, 1
	s_delay_alu instid0(VALU_DEP_3) | instskip(SKIP_3) | instid1(VALU_DEP_2)
	v_dual_sub_f32 v15, v36, v34 :: v_dual_fmamk_f32 v16, v10, 0xb102e308, v16
	v_add_co_u32 v34, null, 0xed9eba14, v38
	s_waitcnt lgkmcnt(0)
	s_mul_i32 s11, s11, s12
	v_dual_sub_f32 v6, v6, v15 :: v_dual_add_f32 v39, v37, v16
	v_xor3_b32 v15, v27, v4, v1
	v_mad_u64_u32 v[1:2], null, 0xd2511f53, v5, 0
	s_delay_alu instid0(VALU_DEP_3) | instskip(NEXT) | instid1(VALU_DEP_3)
	v_dual_add_f32 v6, v9, v6 :: v_dual_sub_f32 v37, v39, v37
	v_mad_u64_u32 v[4:5], null, 0xd2511f53, v15, 0
	s_mul_i32 s11, s11, s10
	s_delay_alu instid0(VALU_DEP_2) | instskip(NEXT) | instid1(VALU_DEP_4)
	v_add_f32_e32 v40, v36, v6
	v_xor3_b32 v2, v34, v2, v8
	v_mad_u64_u32 v[8:9], null, s13, s10, v[0:1]
	s_lshl_b32 s11, s11, 2
	s_delay_alu instid0(VALU_DEP_3) | instskip(SKIP_2) | instid1(VALU_DEP_3)
	v_add_f32_e32 v41, v39, v40
	v_xor3_b32 v5, v35, v5, v1
	v_mad_u64_u32 v[9:10], null, 0xcd9e8d57, v2, 0
	v_sub_f32_e32 v15, v41, v39
	s_delay_alu instid0(VALU_DEP_3) | instskip(NEXT) | instid1(VALU_DEP_2)
	v_mad_u64_u32 v[1:2], null, 0xcd9e8d57, v5, 0
	v_dual_sub_f32 v42, v16, v37 :: v_dual_sub_f32 v5, v41, v15
	s_delay_alu instid0(VALU_DEP_4) | instskip(SKIP_1) | instid1(VALU_DEP_4)
	v_xor3_b32 v3, v21, v10, v3
	v_sub_f32_e32 v10, v40, v15
	v_xor3_b32 v9, v28, v2, v9
	s_delay_alu instid0(VALU_DEP_4) | instskip(NEXT) | instid1(VALU_DEP_1)
	v_dual_sub_f32 v15, v39, v5 :: v_dual_sub_f32 v36, v40, v36
	v_sub_f32_e32 v44, v6, v36
	v_mad_u64_u32 v[5:6], null, 0xd2511f53, v3, 0
	v_add_co_u32 v36, null, 0x646e171e, v38
	s_delay_alu instid0(VALU_DEP_3) | instskip(SKIP_2) | instid1(VALU_DEP_4)
	v_add_f32_e32 v37, v42, v44
	v_add_f32_e32 v3, v10, v15
	v_mad_u64_u32 v[15:16], null, s14, s10, v[0:1]
	v_xor3_b32 v4, v36, v6, v4
	s_delay_alu instid0(VALU_DEP_3) | instskip(SKIP_1) | instid1(VALU_DEP_3)
	v_add_f32_e32 v16, v37, v3
	v_mad_u64_u32 v[2:3], null, 0xd2511f53, v9, 0
	v_mad_u64_u32 v[9:10], null, 0xcd9e8d57, v4, 0
	s_delay_alu instid0(VALU_DEP_3) | instskip(NEXT) | instid1(VALU_DEP_1)
	v_add_f32_e32 v40, v41, v16
	v_dual_sub_f32 v6, v37, v42 :: v_dual_sub_f32 v39, v40, v41
	s_delay_alu instid0(VALU_DEP_1) | instskip(SKIP_2) | instid1(VALU_DEP_4)
	v_sub_f32_e32 v4, v37, v6
	v_add_co_u32 v37, null, 0x1fd5c5a3, v38
	v_sub_f32_e32 v6, v44, v6
	v_sub_f32_e32 v16, v16, v39
	s_delay_alu instid0(VALU_DEP_4) | instskip(NEXT) | instid1(VALU_DEP_4)
	v_sub_f32_e32 v4, v42, v4
	v_xor3_b32 v3, v37, v3, v5
	v_xor3_b32 v10, v20, v10, v1
	v_mad_u64_u32 v[41:42], null, s15, s10, v[0:1]
	s_delay_alu instid0(VALU_DEP_4) | instskip(NEXT) | instid1(VALU_DEP_4)
	v_add_f32_e32 v6, v6, v4
	v_mad_u64_u32 v[0:1], null, 0xcd9e8d57, v3, 0
	s_delay_alu instid0(VALU_DEP_4) | instskip(NEXT) | instid1(VALU_DEP_3)
	v_mad_u64_u32 v[4:5], null, 0xd2511f53, v10, 0
	v_add_f32_e32 v3, v6, v16
	v_add_co_u32 v38, null, 0xdb3d7428, v38
	v_mul_lo_u32 v39, s12, v7
	v_xor3_b32 v1, v29, v1, v9
	s_delay_alu instid0(VALU_DEP_4) | instskip(NEXT) | instid1(VALU_DEP_4)
	v_add_f32_e32 v3, v40, v3
	v_xor3_b32 v7, v38, v5, v2
	v_cmp_gt_f32_e64 s10, 0x33800000, |v43|
	v_mul_lo_u32 v40, s12, v15
	v_mad_u64_u32 v[5:6], null, 0xd2511f53, v1, 0
	v_cndmask_b32_e64 v3, v3, -v43, vcc_lo
	v_cmp_nlt_f32_e32 vcc_lo, 1.0, v43
	v_mad_u64_u32 v[1:2], null, 0xcd9e8d57, v7, 0
	v_mul_lo_u32 v41, s12, v41
	v_mul_lo_u32 v42, s12, v8
	v_cndmask_b32_e32 v3, 0x7fc00000, v3, vcc_lo
	v_cmp_neq_f32_e32 vcc_lo, 1.0, v43
	v_mov_b32_e32 v44, v14
	s_mov_b32 s12, 0
	v_xor3_b32 v0, v2, v0, v18
	v_xor3_b32 v2, v6, v4, v19
	v_cndmask_b32_e32 v7, 0xff800000, v3, vcc_lo
	v_mov_b32_e32 v3, v5
	s_delay_alu instid0(VALU_DEP_2)
	v_cndmask_b32_e64 v43, v7, -v43, s10
	s_mul_i32 s10, s8, 3
	s_branch .LBB6_8
.LBB6_7:                                ;   in Loop: Header=BB6_8 Depth=1
	s_or_b32 exec_lo, exec_lo, s13
	v_add_co_u32 v13, vcc_lo, v13, s9
	v_add_co_ci_u32_e32 v14, vcc_lo, 0, v14, vcc_lo
	v_mov_b32_e32 v7, v15
	v_dual_mov_b32 v0, v4 :: v_dual_mov_b32 v1, v5
	s_delay_alu instid0(VALU_DEP_3) | instskip(NEXT) | instid1(VALU_DEP_3)
	v_cmp_le_i64_e32 vcc_lo, s[2:3], v[13:14]
	v_dual_mov_b32 v2, v6 :: v_dual_mov_b32 v3, v7
	s_add_i32 s12, s12, s11
	s_waitcnt_vscnt null, 0x0
	s_barrier
	s_or_b32 s0, vcc_lo, s0
	buffer_gl0_inv
	s_and_not1_b32 exec_lo, exec_lo, s0
	s_cbranch_execz .LBB6_26
.LBB6_8:                                ; =>This Inner Loop Header: Depth=1
	v_add_co_u32 v24, vcc_lo, v24, 1
	s_delay_alu instid0(VALU_DEP_1) | instskip(SKIP_2) | instid1(VALU_DEP_1)
	v_cndmask_b32_e64 v4, 0, 1, vcc_lo
	v_add_co_ci_u32_e32 v25, vcc_lo, 0, v25, vcc_lo
	s_mov_b32 s13, exec_lo
	v_cmp_eq_u32_e32 vcc_lo, 0, v25
	s_delay_alu instid0(VALU_DEP_3) | instskip(NEXT) | instid1(VALU_DEP_1)
	v_cndmask_b32_e32 v4, 0, v4, vcc_lo
	v_add_nc_u32_e32 v33, v4, v33
	s_delay_alu instid0(VALU_DEP_1) | instskip(SKIP_2) | instid1(VALU_DEP_2)
	v_cmp_eq_u32_e32 vcc_lo, 0, v33
	v_cndmask_b32_e32 v4, 0, v4, vcc_lo
	v_mad_u64_u32 v[6:7], null, 0xcd9e8d57, v33, 0
	v_add_nc_u32_e32 v44, v4, v44
	v_mad_u64_u32 v[4:5], null, 0xd2511f53, v24, 0
	s_delay_alu instid0(VALU_DEP_3) | instskip(NEXT) | instid1(VALU_DEP_2)
	v_xor3_b32 v9, v7, v11, v25
	v_xor_b32_e32 v5, v5, v12
	s_delay_alu instid0(VALU_DEP_2) | instskip(NEXT) | instid1(VALU_DEP_2)
	v_mad_u64_u32 v[7:8], null, 0xd2511f53, v9, 0
	v_xor_b32_e32 v5, v44, v5
	s_delay_alu instid0(VALU_DEP_2) | instskip(NEXT) | instid1(VALU_DEP_2)
	v_xor3_b32 v8, v30, v8, v4
	v_mad_u64_u32 v[9:10], null, 0xcd9e8d57, v5, 0
	s_delay_alu instid0(VALU_DEP_2) | instskip(NEXT) | instid1(VALU_DEP_2)
	v_mad_u64_u32 v[4:5], null, 0xcd9e8d57, v8, 0
	v_xor3_b32 v6, v23, v10, v6
	s_delay_alu instid0(VALU_DEP_2) | instskip(NEXT) | instid1(VALU_DEP_2)
	v_xor3_b32 v8, v26, v5, v9
	v_mad_u64_u32 v[15:16], null, 0xd2511f53, v6, 0
	s_delay_alu instid0(VALU_DEP_2) | instskip(NEXT) | instid1(VALU_DEP_2)
	v_mad_u64_u32 v[5:6], null, 0xd2511f53, v8, 0
	v_xor3_b32 v9, v31, v16, v7
	s_delay_alu instid0(VALU_DEP_2) | instskip(NEXT) | instid1(VALU_DEP_2)
	v_xor3_b32 v6, v32, v6, v15
	v_mad_u64_u32 v[7:8], null, 0xcd9e8d57, v9, 0
	s_delay_alu instid0(VALU_DEP_1) | instskip(NEXT) | instid1(VALU_DEP_3)
	v_xor3_b32 v4, v22, v8, v4
	v_mad_u64_u32 v[8:9], null, 0xcd9e8d57, v6, 0
	s_delay_alu instid0(VALU_DEP_2) | instskip(NEXT) | instid1(VALU_DEP_2)
	v_mad_u64_u32 v[15:16], null, 0xd2511f53, v4, 0
	v_xor3_b32 v6, v27, v9, v7
	s_delay_alu instid0(VALU_DEP_2) | instskip(NEXT) | instid1(VALU_DEP_2)
	v_xor3_b32 v9, v34, v16, v5
	v_mad_u64_u32 v[4:5], null, 0xd2511f53, v6, 0
	s_delay_alu instid0(VALU_DEP_2) | instskip(NEXT) | instid1(VALU_DEP_2)
	v_mad_u64_u32 v[6:7], null, 0xcd9e8d57, v9, 0
	v_xor3_b32 v5, v35, v5, v15
	s_delay_alu instid0(VALU_DEP_2) | instskip(NEXT) | instid1(VALU_DEP_2)
	;; [unrolled: 6-line block ×6, first 2 shown]
	v_xor3_b32 v4, v6, v7, v18
	v_mov_b32_e32 v6, v10
	v_cmpx_lt_i32_e32 1, v17
	s_xor_b32 s13, exec_lo, s13
	s_cbranch_execnz .LBB6_18
; %bb.9:                                ;   in Loop: Header=BB6_8 Depth=1
	s_and_not1_saveexec_b32 s13, s13
	s_cbranch_execnz .LBB6_23
.LBB6_10:                               ;   in Loop: Header=BB6_8 Depth=1
	s_or_b32 exec_lo, exec_lo, s13
	s_delay_alu instid0(SALU_CYCLE_1)
	s_mov_b32 s13, exec_lo
	v_cmpx_gt_i64_e64 s[4:5], v[13:14]
	s_cbranch_execz .LBB6_12
.LBB6_11:                               ;   in Loop: Header=BB6_8 Depth=1
	v_cvt_f32_u32_e32 v0, v0
	s_delay_alu instid0(VALU_DEP_1) | instskip(NEXT) | instid1(VALU_DEP_1)
	v_fmaak_f32 v0, 0x2f800000, v0, 0x2f800000
	v_cmp_gt_f32_e32 vcc_lo, 0x800000, v0
	v_cndmask_b32_e64 v7, 1.0, 0x4f800000, vcc_lo
	s_delay_alu instid0(VALU_DEP_1) | instskip(NEXT) | instid1(VALU_DEP_1)
	v_mul_f32_e32 v0, v0, v7
	v_log_f32_e32 v0, v0
	s_waitcnt_depctr 0xfff
	v_mul_f32_e32 v7, 0x3f317217, v0
	s_delay_alu instid0(VALU_DEP_1) | instskip(NEXT) | instid1(VALU_DEP_1)
	v_fma_f32 v8, 0x3f317217, v0, -v7
	v_fmac_f32_e32 v8, 0x3377d1cf, v0
	s_delay_alu instid0(VALU_DEP_1) | instskip(SKIP_2) | instid1(VALU_DEP_3)
	v_add_f32_e32 v7, v7, v8
	v_cndmask_b32_e64 v8, 0, 0x41b17218, vcc_lo
	v_cmp_gt_f32_e64 vcc_lo, 0x7f800000, |v0|
	v_cndmask_b32_e32 v0, v0, v7, vcc_lo
	s_delay_alu instid0(VALU_DEP_1) | instskip(NEXT) | instid1(VALU_DEP_1)
	v_sub_f32_e32 v0, v0, v8
	v_div_scale_f32 v7, null, v43, v43, v0
	s_delay_alu instid0(VALU_DEP_1) | instskip(SKIP_2) | instid1(VALU_DEP_1)
	v_rcp_f32_e32 v8, v7
	s_waitcnt_depctr 0xfff
	v_fma_f32 v9, -v7, v8, 1.0
	v_fmac_f32_e32 v8, v9, v8
	v_div_scale_f32 v9, vcc_lo, v0, v43, v0
	s_delay_alu instid0(VALU_DEP_1) | instskip(NEXT) | instid1(VALU_DEP_1)
	v_mul_f32_e32 v10, v9, v8
	v_fma_f32 v16, -v7, v10, v9
	s_delay_alu instid0(VALU_DEP_1) | instskip(NEXT) | instid1(VALU_DEP_1)
	v_fmac_f32_e32 v10, v16, v8
	v_fma_f32 v7, -v7, v10, v9
	s_delay_alu instid0(VALU_DEP_1) | instskip(SKIP_1) | instid1(VALU_DEP_2)
	v_div_fmas_f32 v7, v7, v8, v10
	v_add_nc_u32_e32 v8, s12, v39
	v_div_fixup_f32 v0, v7, v43, v0
	s_delay_alu instid0(VALU_DEP_2) | instskip(SKIP_1) | instid1(VALU_DEP_3)
	v_ashrrev_i32_e32 v9, 31, v8
	v_add_co_u32 v7, vcc_lo, s6, v8
	v_ceil_f32_e32 v0, v0
	s_delay_alu instid0(VALU_DEP_3) | instskip(NEXT) | instid1(VALU_DEP_2)
	v_add_co_ci_u32_e32 v8, vcc_lo, s7, v9, vcc_lo
	v_cvt_i32_f32_e32 v0, v0
	global_store_b8 v[7:8], v0, off
.LBB6_12:                               ;   in Loop: Header=BB6_8 Depth=1
	s_or_b32 exec_lo, exec_lo, s13
	v_add_co_u32 v7, vcc_lo, s8, v13
	v_add_co_ci_u32_e32 v8, vcc_lo, 0, v14, vcc_lo
	s_mov_b32 s13, exec_lo
	s_delay_alu instid0(VALU_DEP_1)
	v_cmpx_gt_i64_e64 s[4:5], v[7:8]
	s_cbranch_execz .LBB6_14
; %bb.13:                               ;   in Loop: Header=BB6_8 Depth=1
	v_cvt_f32_u32_e32 v0, v1
	s_delay_alu instid0(VALU_DEP_1) | instskip(NEXT) | instid1(VALU_DEP_1)
	v_fmaak_f32 v0, 0x2f800000, v0, 0x2f800000
	v_cmp_gt_f32_e32 vcc_lo, 0x800000, v0
	v_cndmask_b32_e64 v1, 1.0, 0x4f800000, vcc_lo
	s_delay_alu instid0(VALU_DEP_1) | instskip(NEXT) | instid1(VALU_DEP_1)
	v_mul_f32_e32 v0, v0, v1
	v_log_f32_e32 v0, v0
	s_waitcnt_depctr 0xfff
	v_mul_f32_e32 v1, 0x3f317217, v0
	s_delay_alu instid0(VALU_DEP_1) | instskip(NEXT) | instid1(VALU_DEP_1)
	v_fma_f32 v7, 0x3f317217, v0, -v1
	v_fmac_f32_e32 v7, 0x3377d1cf, v0
	s_delay_alu instid0(VALU_DEP_1) | instskip(SKIP_2) | instid1(VALU_DEP_3)
	v_add_f32_e32 v1, v1, v7
	v_cndmask_b32_e64 v7, 0, 0x41b17218, vcc_lo
	v_cmp_gt_f32_e64 vcc_lo, 0x7f800000, |v0|
	v_cndmask_b32_e32 v0, v0, v1, vcc_lo
	s_delay_alu instid0(VALU_DEP_1) | instskip(NEXT) | instid1(VALU_DEP_1)
	v_sub_f32_e32 v0, v0, v7
	v_div_scale_f32 v1, null, v43, v43, v0
	s_delay_alu instid0(VALU_DEP_1) | instskip(SKIP_2) | instid1(VALU_DEP_1)
	v_rcp_f32_e32 v7, v1
	s_waitcnt_depctr 0xfff
	v_fma_f32 v8, -v1, v7, 1.0
	v_fmac_f32_e32 v7, v8, v7
	v_div_scale_f32 v8, vcc_lo, v0, v43, v0
	s_delay_alu instid0(VALU_DEP_1) | instskip(NEXT) | instid1(VALU_DEP_1)
	v_mul_f32_e32 v9, v8, v7
	v_fma_f32 v10, -v1, v9, v8
	s_delay_alu instid0(VALU_DEP_1) | instskip(NEXT) | instid1(VALU_DEP_1)
	v_fmac_f32_e32 v9, v10, v7
	v_fma_f32 v1, -v1, v9, v8
	s_delay_alu instid0(VALU_DEP_1) | instskip(SKIP_1) | instid1(VALU_DEP_2)
	v_div_fmas_f32 v1, v1, v7, v9
	v_add_nc_u32_e32 v7, s12, v42
	v_div_fixup_f32 v0, v1, v43, v0
	s_delay_alu instid0(VALU_DEP_2) | instskip(NEXT) | instid1(VALU_DEP_2)
	v_ashrrev_i32_e32 v1, 31, v7
	v_ceil_f32_e32 v8, v0
	v_add_co_u32 v0, vcc_lo, s6, v7
	s_delay_alu instid0(VALU_DEP_3) | instskip(NEXT) | instid1(VALU_DEP_3)
	v_add_co_ci_u32_e32 v1, vcc_lo, s7, v1, vcc_lo
	v_cvt_i32_f32_e32 v7, v8
	global_store_b8 v[0:1], v7, off
.LBB6_14:                               ;   in Loop: Header=BB6_8 Depth=1
	s_or_b32 exec_lo, exec_lo, s13
	v_add_co_u32 v0, vcc_lo, s1, v13
	v_add_co_ci_u32_e32 v1, vcc_lo, 0, v14, vcc_lo
	s_mov_b32 s13, exec_lo
	s_delay_alu instid0(VALU_DEP_1)
	v_cmpx_gt_i64_e64 s[4:5], v[0:1]
	s_cbranch_execz .LBB6_16
; %bb.15:                               ;   in Loop: Header=BB6_8 Depth=1
	v_cvt_f32_u32_e32 v0, v2
	s_delay_alu instid0(VALU_DEP_1) | instskip(NEXT) | instid1(VALU_DEP_1)
	v_fmaak_f32 v0, 0x2f800000, v0, 0x2f800000
	v_cmp_gt_f32_e32 vcc_lo, 0x800000, v0
	v_cndmask_b32_e64 v1, 1.0, 0x4f800000, vcc_lo
	s_delay_alu instid0(VALU_DEP_1) | instskip(NEXT) | instid1(VALU_DEP_1)
	v_mul_f32_e32 v0, v0, v1
	v_log_f32_e32 v0, v0
	s_waitcnt_depctr 0xfff
	v_mul_f32_e32 v1, 0x3f317217, v0
	s_delay_alu instid0(VALU_DEP_1) | instskip(NEXT) | instid1(VALU_DEP_1)
	v_fma_f32 v2, 0x3f317217, v0, -v1
	v_fmac_f32_e32 v2, 0x3377d1cf, v0
	s_delay_alu instid0(VALU_DEP_1) | instskip(SKIP_2) | instid1(VALU_DEP_3)
	v_add_f32_e32 v1, v1, v2
	v_cndmask_b32_e64 v2, 0, 0x41b17218, vcc_lo
	v_cmp_gt_f32_e64 vcc_lo, 0x7f800000, |v0|
	v_cndmask_b32_e32 v0, v0, v1, vcc_lo
	s_delay_alu instid0(VALU_DEP_1) | instskip(NEXT) | instid1(VALU_DEP_1)
	v_sub_f32_e32 v0, v0, v2
	v_div_scale_f32 v1, null, v43, v43, v0
	s_delay_alu instid0(VALU_DEP_1) | instskip(SKIP_2) | instid1(VALU_DEP_1)
	v_rcp_f32_e32 v2, v1
	s_waitcnt_depctr 0xfff
	v_fma_f32 v7, -v1, v2, 1.0
	v_fmac_f32_e32 v2, v7, v2
	v_div_scale_f32 v7, vcc_lo, v0, v43, v0
	s_delay_alu instid0(VALU_DEP_1) | instskip(NEXT) | instid1(VALU_DEP_1)
	v_mul_f32_e32 v8, v7, v2
	v_fma_f32 v9, -v1, v8, v7
	s_delay_alu instid0(VALU_DEP_1) | instskip(NEXT) | instid1(VALU_DEP_1)
	v_fmac_f32_e32 v8, v9, v2
	v_fma_f32 v1, -v1, v8, v7
	s_delay_alu instid0(VALU_DEP_1) | instskip(SKIP_1) | instid1(VALU_DEP_2)
	v_div_fmas_f32 v1, v1, v2, v8
	v_add_nc_u32_e32 v2, s12, v41
	v_div_fixup_f32 v0, v1, v43, v0
	s_delay_alu instid0(VALU_DEP_2) | instskip(NEXT) | instid1(VALU_DEP_2)
	v_ashrrev_i32_e32 v1, 31, v2
	v_ceil_f32_e32 v7, v0
	v_add_co_u32 v0, vcc_lo, s6, v2
	s_delay_alu instid0(VALU_DEP_3) | instskip(NEXT) | instid1(VALU_DEP_3)
	v_add_co_ci_u32_e32 v1, vcc_lo, s7, v1, vcc_lo
	v_cvt_i32_f32_e32 v2, v7
	global_store_b8 v[0:1], v2, off
.LBB6_16:                               ;   in Loop: Header=BB6_8 Depth=1
	s_or_b32 exec_lo, exec_lo, s13
	v_add_co_u32 v0, vcc_lo, s10, v13
	v_add_co_ci_u32_e32 v1, vcc_lo, 0, v14, vcc_lo
	s_mov_b32 s13, exec_lo
	s_delay_alu instid0(VALU_DEP_1)
	v_cmpx_gt_i64_e64 s[4:5], v[0:1]
	s_cbranch_execz .LBB6_7
; %bb.17:                               ;   in Loop: Header=BB6_8 Depth=1
	v_cvt_f32_u32_e32 v0, v3
	s_delay_alu instid0(VALU_DEP_1) | instskip(NEXT) | instid1(VALU_DEP_1)
	v_fmaak_f32 v0, 0x2f800000, v0, 0x2f800000
	v_cmp_gt_f32_e32 vcc_lo, 0x800000, v0
	v_cndmask_b32_e64 v1, 1.0, 0x4f800000, vcc_lo
	s_delay_alu instid0(VALU_DEP_1) | instskip(NEXT) | instid1(VALU_DEP_1)
	v_mul_f32_e32 v0, v0, v1
	v_log_f32_e32 v0, v0
	s_waitcnt_depctr 0xfff
	v_mul_f32_e32 v1, 0x3f317217, v0
	s_delay_alu instid0(VALU_DEP_1) | instskip(NEXT) | instid1(VALU_DEP_1)
	v_fma_f32 v2, 0x3f317217, v0, -v1
	v_fmac_f32_e32 v2, 0x3377d1cf, v0
	s_delay_alu instid0(VALU_DEP_1) | instskip(SKIP_2) | instid1(VALU_DEP_3)
	v_add_f32_e32 v1, v1, v2
	v_cndmask_b32_e64 v2, 0, 0x41b17218, vcc_lo
	v_cmp_gt_f32_e64 vcc_lo, 0x7f800000, |v0|
	v_cndmask_b32_e32 v0, v0, v1, vcc_lo
	s_delay_alu instid0(VALU_DEP_1) | instskip(NEXT) | instid1(VALU_DEP_1)
	v_sub_f32_e32 v0, v0, v2
	v_div_scale_f32 v1, null, v43, v43, v0
	s_delay_alu instid0(VALU_DEP_1) | instskip(SKIP_2) | instid1(VALU_DEP_1)
	v_rcp_f32_e32 v2, v1
	s_waitcnt_depctr 0xfff
	v_fma_f32 v3, -v1, v2, 1.0
	v_fmac_f32_e32 v2, v3, v2
	v_div_scale_f32 v3, vcc_lo, v0, v43, v0
	s_delay_alu instid0(VALU_DEP_1) | instskip(NEXT) | instid1(VALU_DEP_1)
	v_mul_f32_e32 v7, v3, v2
	v_fma_f32 v8, -v1, v7, v3
	s_delay_alu instid0(VALU_DEP_1) | instskip(NEXT) | instid1(VALU_DEP_1)
	v_fmac_f32_e32 v7, v8, v2
	v_fma_f32 v1, -v1, v7, v3
	s_delay_alu instid0(VALU_DEP_1) | instskip(SKIP_1) | instid1(VALU_DEP_2)
	v_div_fmas_f32 v1, v1, v2, v7
	v_add_nc_u32_e32 v2, s12, v40
	v_div_fixup_f32 v0, v1, v43, v0
	s_delay_alu instid0(VALU_DEP_2) | instskip(NEXT) | instid1(VALU_DEP_2)
	v_ashrrev_i32_e32 v1, 31, v2
	v_ceil_f32_e32 v3, v0
	v_add_co_u32 v0, vcc_lo, s6, v2
	s_delay_alu instid0(VALU_DEP_3) | instskip(NEXT) | instid1(VALU_DEP_3)
	v_add_co_ci_u32_e32 v1, vcc_lo, s7, v1, vcc_lo
	v_cvt_i32_f32_e32 v2, v3
	global_store_b8 v[0:1], v2, off
	s_branch .LBB6_7
.LBB6_18:                               ;   in Loop: Header=BB6_8 Depth=1
	s_mov_b32 s14, exec_lo
	v_cmpx_lt_i32_e32 2, v17
	s_xor_b32 s14, exec_lo, s14
; %bb.19:                               ;   in Loop: Header=BB6_8 Depth=1
	v_dual_mov_b32 v7, v3 :: v_dual_mov_b32 v8, v4
	v_mov_b32_e32 v9, v5
	s_delay_alu instid0(VALU_DEP_2) | instskip(NEXT) | instid1(VALU_DEP_2)
	v_dual_mov_b32 v0, v7 :: v_dual_mov_b32 v1, v8
	v_dual_mov_b32 v2, v9 :: v_dual_mov_b32 v3, v10
; %bb.20:                               ;   in Loop: Header=BB6_8 Depth=1
	s_and_not1_saveexec_b32 s14, s14
; %bb.21:                               ;   in Loop: Header=BB6_8 Depth=1
	s_delay_alu instid0(VALU_DEP_1)
	v_dual_mov_b32 v0, v2 :: v_dual_mov_b32 v1, v3
	v_dual_mov_b32 v2, v4 :: v_dual_mov_b32 v3, v5
; %bb.22:                               ;   in Loop: Header=BB6_8 Depth=1
	s_or_b32 exec_lo, exec_lo, s14
	s_and_not1_saveexec_b32 s13, s13
	s_cbranch_execz .LBB6_10
.LBB6_23:                               ;   in Loop: Header=BB6_8 Depth=1
	s_mov_b32 s14, exec_lo
	v_cmpx_eq_u32_e32 1, v17
; %bb.24:                               ;   in Loop: Header=BB6_8 Depth=1
	v_dual_mov_b32 v0, v1 :: v_dual_mov_b32 v1, v2
	v_dual_mov_b32 v2, v3 :: v_dual_mov_b32 v3, v4
; %bb.25:                               ;   in Loop: Header=BB6_8 Depth=1
	s_or_b32 exec_lo, exec_lo, s14
	s_delay_alu instid0(SALU_CYCLE_1) | instskip(NEXT) | instid1(SALU_CYCLE_1)
	s_or_b32 exec_lo, exec_lo, s13
	s_mov_b32 s13, exec_lo
	v_cmpx_gt_i64_e64 s[4:5], v[13:14]
	s_cbranch_execnz .LBB6_11
	s_branch .LBB6_12
.LBB6_26:
	s_endpgm
.LBB6_27:
                                        ; implicit-def: $sgpr2_sgpr3
	s_branch .LBB6_4
	.section	.rodata,"a",@progbits
	.p2align	6, 0x0
	.amdhsa_kernel _ZN2at6native12_GLOBAL__N_143distribution_elementwise_grid_stride_kernelIfLi4EZNS0_9templates4cuda21uniform_and_transformIafPNS_17CUDAGeneratorImplEZZZNS4_16geometric_kernelIS7_EEvRNS_18TensorIteratorBaseEdT_ENKUlvE_clEvENKUlvE0_clEvEUlfE_EEvSA_T1_T2_EUlP25hiprandStatePhilox4_32_10E0_ZNS1_27distribution_nullary_kernelIaf15HIP_vector_typeIfLj4EES7_SJ_SE_EEvSA_SG_RKT3_T4_EUlifE_EEvlNS_15PhiloxCudaStateESF_SG_
		.amdhsa_group_segment_fixed_size 0
		.amdhsa_private_segment_fixed_size 0
		.amdhsa_kernarg_size 328
		.amdhsa_user_sgpr_count 15
		.amdhsa_user_sgpr_dispatch_ptr 0
		.amdhsa_user_sgpr_queue_ptr 0
		.amdhsa_user_sgpr_kernarg_segment_ptr 1
		.amdhsa_user_sgpr_dispatch_id 0
		.amdhsa_user_sgpr_private_segment_size 0
		.amdhsa_wavefront_size32 1
		.amdhsa_uses_dynamic_stack 0
		.amdhsa_enable_private_segment 0
		.amdhsa_system_sgpr_workgroup_id_x 1
		.amdhsa_system_sgpr_workgroup_id_y 0
		.amdhsa_system_sgpr_workgroup_id_z 0
		.amdhsa_system_sgpr_workgroup_info 0
		.amdhsa_system_vgpr_workitem_id 0
		.amdhsa_next_free_vgpr 45
		.amdhsa_next_free_sgpr 23
		.amdhsa_reserve_vcc 1
		.amdhsa_float_round_mode_32 0
		.amdhsa_float_round_mode_16_64 0
		.amdhsa_float_denorm_mode_32 3
		.amdhsa_float_denorm_mode_16_64 3
		.amdhsa_dx10_clamp 1
		.amdhsa_ieee_mode 1
		.amdhsa_fp16_overflow 0
		.amdhsa_workgroup_processor_mode 1
		.amdhsa_memory_ordered 1
		.amdhsa_forward_progress 0
		.amdhsa_shared_vgpr_count 0
		.amdhsa_exception_fp_ieee_invalid_op 0
		.amdhsa_exception_fp_denorm_src 0
		.amdhsa_exception_fp_ieee_div_zero 0
		.amdhsa_exception_fp_ieee_overflow 0
		.amdhsa_exception_fp_ieee_underflow 0
		.amdhsa_exception_fp_ieee_inexact 0
		.amdhsa_exception_int_div_zero 0
	.end_amdhsa_kernel
	.section	.text._ZN2at6native12_GLOBAL__N_143distribution_elementwise_grid_stride_kernelIfLi4EZNS0_9templates4cuda21uniform_and_transformIafPNS_17CUDAGeneratorImplEZZZNS4_16geometric_kernelIS7_EEvRNS_18TensorIteratorBaseEdT_ENKUlvE_clEvENKUlvE0_clEvEUlfE_EEvSA_T1_T2_EUlP25hiprandStatePhilox4_32_10E0_ZNS1_27distribution_nullary_kernelIaf15HIP_vector_typeIfLj4EES7_SJ_SE_EEvSA_SG_RKT3_T4_EUlifE_EEvlNS_15PhiloxCudaStateESF_SG_,"axG",@progbits,_ZN2at6native12_GLOBAL__N_143distribution_elementwise_grid_stride_kernelIfLi4EZNS0_9templates4cuda21uniform_and_transformIafPNS_17CUDAGeneratorImplEZZZNS4_16geometric_kernelIS7_EEvRNS_18TensorIteratorBaseEdT_ENKUlvE_clEvENKUlvE0_clEvEUlfE_EEvSA_T1_T2_EUlP25hiprandStatePhilox4_32_10E0_ZNS1_27distribution_nullary_kernelIaf15HIP_vector_typeIfLj4EES7_SJ_SE_EEvSA_SG_RKT3_T4_EUlifE_EEvlNS_15PhiloxCudaStateESF_SG_,comdat
.Lfunc_end6:
	.size	_ZN2at6native12_GLOBAL__N_143distribution_elementwise_grid_stride_kernelIfLi4EZNS0_9templates4cuda21uniform_and_transformIafPNS_17CUDAGeneratorImplEZZZNS4_16geometric_kernelIS7_EEvRNS_18TensorIteratorBaseEdT_ENKUlvE_clEvENKUlvE0_clEvEUlfE_EEvSA_T1_T2_EUlP25hiprandStatePhilox4_32_10E0_ZNS1_27distribution_nullary_kernelIaf15HIP_vector_typeIfLj4EES7_SJ_SE_EEvSA_SG_RKT3_T4_EUlifE_EEvlNS_15PhiloxCudaStateESF_SG_, .Lfunc_end6-_ZN2at6native12_GLOBAL__N_143distribution_elementwise_grid_stride_kernelIfLi4EZNS0_9templates4cuda21uniform_and_transformIafPNS_17CUDAGeneratorImplEZZZNS4_16geometric_kernelIS7_EEvRNS_18TensorIteratorBaseEdT_ENKUlvE_clEvENKUlvE0_clEvEUlfE_EEvSA_T1_T2_EUlP25hiprandStatePhilox4_32_10E0_ZNS1_27distribution_nullary_kernelIaf15HIP_vector_typeIfLj4EES7_SJ_SE_EEvSA_SG_RKT3_T4_EUlifE_EEvlNS_15PhiloxCudaStateESF_SG_
                                        ; -- End function
	.section	.AMDGPU.csdata,"",@progbits
; Kernel info:
; codeLenInByte = 4416
; NumSgprs: 25
; NumVgprs: 45
; ScratchSize: 0
; MemoryBound: 0
; FloatMode: 240
; IeeeMode: 1
; LDSByteSize: 0 bytes/workgroup (compile time only)
; SGPRBlocks: 3
; VGPRBlocks: 5
; NumSGPRsForWavesPerEU: 25
; NumVGPRsForWavesPerEU: 45
; Occupancy: 16
; WaveLimiterHint : 0
; COMPUTE_PGM_RSRC2:SCRATCH_EN: 0
; COMPUTE_PGM_RSRC2:USER_SGPR: 15
; COMPUTE_PGM_RSRC2:TRAP_HANDLER: 0
; COMPUTE_PGM_RSRC2:TGID_X_EN: 1
; COMPUTE_PGM_RSRC2:TGID_Y_EN: 0
; COMPUTE_PGM_RSRC2:TGID_Z_EN: 0
; COMPUTE_PGM_RSRC2:TIDIG_COMP_CNT: 0
	.section	.text._ZN2at6native12_GLOBAL__N_143distribution_elementwise_grid_stride_kernelIfLi4EZNS0_9templates4cuda21uniform_and_transformIafPNS_17CUDAGeneratorImplEZZZNS4_16geometric_kernelIS7_EEvRNS_18TensorIteratorBaseEdT_ENKUlvE_clEvENKUlvE0_clEvEUlfE_EEvSA_T1_T2_EUlP25hiprandStatePhilox4_32_10E0_ZNS1_27distribution_nullary_kernelIaf15HIP_vector_typeIfLj4EES7_SJ_SE_EEvSA_SG_RKT3_T4_EUlifE0_EEvlNS_15PhiloxCudaStateESF_SG_,"axG",@progbits,_ZN2at6native12_GLOBAL__N_143distribution_elementwise_grid_stride_kernelIfLi4EZNS0_9templates4cuda21uniform_and_transformIafPNS_17CUDAGeneratorImplEZZZNS4_16geometric_kernelIS7_EEvRNS_18TensorIteratorBaseEdT_ENKUlvE_clEvENKUlvE0_clEvEUlfE_EEvSA_T1_T2_EUlP25hiprandStatePhilox4_32_10E0_ZNS1_27distribution_nullary_kernelIaf15HIP_vector_typeIfLj4EES7_SJ_SE_EEvSA_SG_RKT3_T4_EUlifE0_EEvlNS_15PhiloxCudaStateESF_SG_,comdat
	.globl	_ZN2at6native12_GLOBAL__N_143distribution_elementwise_grid_stride_kernelIfLi4EZNS0_9templates4cuda21uniform_and_transformIafPNS_17CUDAGeneratorImplEZZZNS4_16geometric_kernelIS7_EEvRNS_18TensorIteratorBaseEdT_ENKUlvE_clEvENKUlvE0_clEvEUlfE_EEvSA_T1_T2_EUlP25hiprandStatePhilox4_32_10E0_ZNS1_27distribution_nullary_kernelIaf15HIP_vector_typeIfLj4EES7_SJ_SE_EEvSA_SG_RKT3_T4_EUlifE0_EEvlNS_15PhiloxCudaStateESF_SG_ ; -- Begin function _ZN2at6native12_GLOBAL__N_143distribution_elementwise_grid_stride_kernelIfLi4EZNS0_9templates4cuda21uniform_and_transformIafPNS_17CUDAGeneratorImplEZZZNS4_16geometric_kernelIS7_EEvRNS_18TensorIteratorBaseEdT_ENKUlvE_clEvENKUlvE0_clEvEUlfE_EEvSA_T1_T2_EUlP25hiprandStatePhilox4_32_10E0_ZNS1_27distribution_nullary_kernelIaf15HIP_vector_typeIfLj4EES7_SJ_SE_EEvSA_SG_RKT3_T4_EUlifE0_EEvlNS_15PhiloxCudaStateESF_SG_
	.p2align	8
	.type	_ZN2at6native12_GLOBAL__N_143distribution_elementwise_grid_stride_kernelIfLi4EZNS0_9templates4cuda21uniform_and_transformIafPNS_17CUDAGeneratorImplEZZZNS4_16geometric_kernelIS7_EEvRNS_18TensorIteratorBaseEdT_ENKUlvE_clEvENKUlvE0_clEvEUlfE_EEvSA_T1_T2_EUlP25hiprandStatePhilox4_32_10E0_ZNS1_27distribution_nullary_kernelIaf15HIP_vector_typeIfLj4EES7_SJ_SE_EEvSA_SG_RKT3_T4_EUlifE0_EEvlNS_15PhiloxCudaStateESF_SG_,@function
_ZN2at6native12_GLOBAL__N_143distribution_elementwise_grid_stride_kernelIfLi4EZNS0_9templates4cuda21uniform_and_transformIafPNS_17CUDAGeneratorImplEZZZNS4_16geometric_kernelIS7_EEvRNS_18TensorIteratorBaseEdT_ENKUlvE_clEvENKUlvE0_clEvEUlfE_EEvSA_T1_T2_EUlP25hiprandStatePhilox4_32_10E0_ZNS1_27distribution_nullary_kernelIaf15HIP_vector_typeIfLj4EES7_SJ_SE_EEvSA_SG_RKT3_T4_EUlifE0_EEvlNS_15PhiloxCudaStateESF_SG_: ; @_ZN2at6native12_GLOBAL__N_143distribution_elementwise_grid_stride_kernelIfLi4EZNS0_9templates4cuda21uniform_and_transformIafPNS_17CUDAGeneratorImplEZZZNS4_16geometric_kernelIS7_EEvRNS_18TensorIteratorBaseEdT_ENKUlvE_clEvENKUlvE0_clEvEUlfE_EEvSA_T1_T2_EUlP25hiprandStatePhilox4_32_10E0_ZNS1_27distribution_nullary_kernelIaf15HIP_vector_typeIfLj4EES7_SJ_SE_EEvSA_SG_RKT3_T4_EUlifE0_EEvlNS_15PhiloxCudaStateESF_SG_
; %bb.0:
	s_clause 0x2
	s_load_b64 s[4:5], s[0:1], 0x10
	s_load_b128 s[16:19], s[0:1], 0x0
	s_load_b32 s2, s[0:1], 0x20
	s_waitcnt lgkmcnt(0)
	v_dual_mov_b32 v2, s4 :: v_dual_mov_b32 v3, s5
	v_dual_mov_b32 v11, s18 :: v_dual_mov_b32 v12, s19
	s_bitcmp0_b32 s2, 0
	s_mov_b32 s2, 0
	s_cbranch_scc1 .LBB7_2
; %bb.1:
	v_dual_mov_b32 v1, s4 :: v_dual_mov_b32 v2, s5
	v_dual_mov_b32 v4, s18 :: v_dual_mov_b32 v5, s19
	s_load_b64 s[4:5], s[0:1], 0x18
	flat_load_b64 v[2:3], v[1:2]
	flat_load_b64 v[11:12], v[4:5]
	s_waitcnt vmcnt(1) lgkmcnt(0)
	v_add_co_u32 v2, vcc_lo, v2, s4
	v_add_co_ci_u32_e32 v3, vcc_lo, s5, v3, vcc_lo
.LBB7_2:
	s_clause 0x1
	s_load_b32 s3, s[0:1], 0x154
	s_load_b32 s4, s[0:1], 0x148
	s_waitcnt lgkmcnt(0)
	s_and_b32 s5, s3, 0xffff
	s_add_u32 s6, s16, -1
	s_mul_i32 s24, s4, s5
	s_addc_u32 s3, s17, -1
	s_lshl_b32 s25, s24, 2
	s_cmp_lg_u64 s[2:3], 0
	s_cbranch_scc0 .LBB7_79
; %bb.3:
	v_cvt_f32_ubyte0_e32 v1, 0
	v_cvt_f32_u32_e32 v4, s25
	s_sub_u32 s8, 0, s25
	s_subb_u32 s9, 0, 0
	s_delay_alu instid0(VALU_DEP_1) | instskip(NEXT) | instid1(VALU_DEP_1)
	v_fmamk_f32 v1, v1, 0x4f800000, v4
	v_rcp_f32_e32 v1, v1
	s_waitcnt_depctr 0xfff
	v_mul_f32_e32 v1, 0x5f7ffffc, v1
	s_delay_alu instid0(VALU_DEP_1) | instskip(NEXT) | instid1(VALU_DEP_1)
	v_mul_f32_e32 v4, 0x2f800000, v1
	v_trunc_f32_e32 v4, v4
	s_delay_alu instid0(VALU_DEP_1) | instskip(SKIP_1) | instid1(VALU_DEP_2)
	v_fmamk_f32 v1, v4, 0xcf800000, v1
	v_cvt_u32_f32_e32 v4, v4
	v_cvt_u32_f32_e32 v1, v1
	s_delay_alu instid0(VALU_DEP_2) | instskip(NEXT) | instid1(VALU_DEP_2)
	v_readfirstlane_b32 s2, v4
	v_readfirstlane_b32 s7, v1
	s_delay_alu instid0(VALU_DEP_2) | instskip(NEXT) | instid1(VALU_DEP_1)
	s_mul_i32 s10, s8, s2
	s_mul_hi_u32 s12, s8, s7
	s_mul_i32 s11, s9, s7
	s_add_i32 s10, s12, s10
	s_mul_i32 s13, s8, s7
	s_add_i32 s10, s10, s11
	s_mul_hi_u32 s12, s7, s13
	s_mul_hi_u32 s14, s2, s13
	s_mul_i32 s11, s2, s13
	s_mul_hi_u32 s13, s7, s10
	s_mul_i32 s7, s7, s10
	s_mul_hi_u32 s18, s2, s10
	s_add_u32 s7, s12, s7
	s_addc_u32 s12, 0, s13
	s_add_u32 s7, s7, s11
	s_mul_i32 s10, s2, s10
	s_addc_u32 s7, s12, s14
	s_addc_u32 s11, s18, 0
	s_add_u32 s7, s7, s10
	s_addc_u32 s10, 0, s11
	v_add_co_u32 v1, s7, v1, s7
	s_delay_alu instid0(VALU_DEP_1) | instskip(SKIP_1) | instid1(VALU_DEP_1)
	s_cmp_lg_u32 s7, 0
	s_addc_u32 s2, s2, s10
	v_readfirstlane_b32 s7, v1
	s_mul_i32 s10, s8, s2
	s_delay_alu instid0(VALU_DEP_1)
	s_mul_hi_u32 s11, s8, s7
	s_mul_i32 s9, s9, s7
	s_add_i32 s10, s11, s10
	s_mul_i32 s8, s8, s7
	s_add_i32 s10, s10, s9
	s_mul_hi_u32 s11, s2, s8
	s_mul_i32 s12, s2, s8
	s_mul_hi_u32 s8, s7, s8
	s_mul_hi_u32 s13, s7, s10
	s_mul_i32 s7, s7, s10
	s_mul_hi_u32 s9, s2, s10
	s_add_u32 s7, s8, s7
	s_addc_u32 s8, 0, s13
	s_add_u32 s7, s7, s12
	s_mul_i32 s10, s2, s10
	s_addc_u32 s7, s8, s11
	s_addc_u32 s8, s9, 0
	s_add_u32 s7, s7, s10
	s_addc_u32 s8, 0, s8
	v_add_co_u32 v1, s7, v1, s7
	s_delay_alu instid0(VALU_DEP_1) | instskip(SKIP_2) | instid1(VALU_DEP_1)
	s_cmp_lg_u32 s7, 0
	s_addc_u32 s7, s2, s8
	s_ashr_i32 s8, s3, 31
	v_readfirstlane_b32 s10, v1
	s_add_u32 s2, s6, s8
	s_mov_b32 s9, s8
	s_addc_u32 s3, s3, s8
	s_delay_alu instid0(SALU_CYCLE_1) | instskip(NEXT) | instid1(SALU_CYCLE_1)
	s_xor_b64 s[2:3], s[2:3], s[8:9]
	s_mul_i32 s12, s2, s7
	s_mul_hi_u32 s13, s2, s10
	s_mul_hi_u32 s11, s2, s7
	;; [unrolled: 1-line block ×3, first 2 shown]
	s_mul_i32 s10, s3, s10
	s_add_u32 s12, s13, s12
	s_addc_u32 s11, 0, s11
	s_mul_hi_u32 s14, s3, s7
	s_add_u32 s10, s12, s10
	s_mul_i32 s7, s3, s7
	s_addc_u32 s10, s11, s18
	s_addc_u32 s11, s14, 0
	s_add_u32 s7, s10, s7
	s_addc_u32 s10, 0, s11
	s_mul_i32 s12, s25, s7
	s_add_u32 s11, s7, 1
	v_sub_co_u32 v1, s2, s2, s12
	s_mul_hi_u32 s12, s25, s7
	s_addc_u32 s13, s10, 0
	s_mul_i32 s14, s25, s10
	s_delay_alu instid0(VALU_DEP_1)
	v_sub_co_u32 v4, s18, v1, s25
	s_add_u32 s19, s7, 2
	s_addc_u32 s20, s10, 0
	s_add_i32 s12, s12, s14
	s_cmp_lg_u32 s2, 0
	v_readfirstlane_b32 s2, v4
	s_subb_u32 s3, s3, s12
	s_cmp_lg_u32 s18, 0
	s_subb_u32 s12, s3, 0
	s_delay_alu instid0(VALU_DEP_1) | instskip(SKIP_4) | instid1(SALU_CYCLE_1)
	s_cmp_ge_u32 s2, s25
	s_cselect_b32 s2, -1, 0
	s_cmp_eq_u32 s12, 0
	v_readfirstlane_b32 s12, v1
	s_cselect_b32 s2, s2, -1
	s_cmp_lg_u32 s2, 0
	s_cselect_b32 s2, s19, s11
	s_cselect_b32 s11, s20, s13
	s_cmp_ge_u32 s12, s25
	s_cselect_b32 s12, -1, 0
	s_cmp_eq_u32 s3, 0
	s_cselect_b32 s3, s12, -1
	s_delay_alu instid0(SALU_CYCLE_1) | instskip(SKIP_2) | instid1(SALU_CYCLE_1)
	s_cmp_lg_u32 s3, 0
	s_cselect_b32 s3, s11, s10
	s_cselect_b32 s2, s2, s7
	s_xor_b64 s[2:3], s[2:3], s[8:9]
	s_delay_alu instid0(SALU_CYCLE_1)
	s_sub_u32 s2, s2, s8
	s_subb_u32 s3, s3, s8
	s_cbranch_execnz .LBB7_5
.LBB7_4:
	v_cvt_f32_u32_e32 v1, s25
	s_sub_i32 s3, 0, s25
	s_delay_alu instid0(VALU_DEP_1) | instskip(SKIP_2) | instid1(VALU_DEP_1)
	v_rcp_iflag_f32_e32 v1, v1
	s_waitcnt_depctr 0xfff
	v_mul_f32_e32 v1, 0x4f7ffffe, v1
	v_cvt_u32_f32_e32 v1, v1
	s_delay_alu instid0(VALU_DEP_1) | instskip(NEXT) | instid1(VALU_DEP_1)
	v_readfirstlane_b32 s2, v1
	s_mul_i32 s3, s3, s2
	s_delay_alu instid0(SALU_CYCLE_1) | instskip(NEXT) | instid1(SALU_CYCLE_1)
	s_mul_hi_u32 s3, s2, s3
	s_add_i32 s2, s2, s3
	s_delay_alu instid0(SALU_CYCLE_1) | instskip(NEXT) | instid1(SALU_CYCLE_1)
	s_mul_hi_u32 s2, s6, s2
	s_mul_i32 s3, s2, s25
	s_delay_alu instid0(SALU_CYCLE_1)
	s_sub_i32 s3, s6, s3
	s_add_i32 s6, s2, 1
	s_sub_i32 s7, s3, s25
	s_cmp_ge_u32 s3, s25
	s_cselect_b32 s2, s6, s2
	s_cselect_b32 s3, s7, s3
	s_add_i32 s6, s2, 1
	s_cmp_ge_u32 s3, s25
	s_mov_b32 s3, 0
	s_cselect_b32 s2, s6, s2
.LBB7_5:
	v_mov_b32_e32 v1, 0
	s_add_u32 s2, s2, 1
	s_addc_u32 s3, s3, 0
	s_mul_hi_u32 s6, s24, s2
	s_mul_i32 s3, s24, s3
	v_mad_u64_u32 v[13:14], null, s5, s15, v[0:1]
	s_mul_hi_u32 s4, s4, s5
	s_add_i32 s3, s6, s3
	s_mul_i32 s4, s4, s2
	s_mul_i32 s2, s24, s2
	s_add_i32 s3, s3, s4
	s_mov_b32 s4, exec_lo
	s_lshl_b64 s[2:3], s[2:3], 2
	s_delay_alu instid0(SALU_CYCLE_1)
	v_cmpx_gt_i64_e64 s[2:3], v[13:14]
	s_cbranch_execz .LBB7_78
; %bb.6:
	s_load_b128 s[12:15], s[0:1], 0x138
	v_alignbit_b32 v24, v3, v2, 2
	s_waitcnt vmcnt(0)
	v_dual_mov_b32 v38, v12 :: v_dual_add_nc_u32 v19, 0x96a522ad, v12
	v_add_co_u32 v23, null, 0x9e3779b9, v11
	s_load_b256 s[4:11], s[0:1], 0x30
	s_waitcnt lgkmcnt(0)
	s_mov_b32 s11, 0x3e9b6dac
	v_add_co_u32 v26, null, 0x3c6ef372, v11
	v_add_co_u32 v32, null, 0x76cf5d0a, v38
	v_add_co_u32 v22, null, 0xdaa66d2b, v11
	v_add_co_u32 v34, null, 0x32370b8f, v38
	v_add_co_u32 v21, null, 0x1715609d, v11
	v_add_co_u32 v37, null, 0xa9066899, v38
	v_cvt_f32_f64_e32 v9, s[14:15]
	v_add_co_u32 v28, null, 0xb54cda56, v11
	v_add_co_u32 v33, null, 0xdb3d7428, v38
	;; [unrolled: 1-line block ×3, first 2 shown]
	s_add_u32 s18, s0, 48
	v_add_co_u32 v30, null, 0xf1bbcdc8, v11
	s_addc_u32 s19, s1, 0
	s_add_i32 s20, s4, -1
	s_load_b64 s[14:15], s[0:1], 0xf4
	s_cmp_gt_u32 s20, 1
	s_mov_b32 s26, 0
	s_mul_i32 s33, s24, 3
	v_add_nc_u32_e32 v18, 0x8ff34781, v11
	v_sub_f32_e32 v4, 1.0, v9
	s_delay_alu instid0(VALU_DEP_1) | instskip(NEXT) | instid1(VALU_DEP_1)
	v_cvt_f64_f32_e32 v[0:1], v4
	v_frexp_exp_i32_f64_e32 v0, v[0:1]
	v_frexp_mant_f32_e32 v1, v4
	s_delay_alu instid0(VALU_DEP_1) | instskip(NEXT) | instid1(VALU_DEP_3)
	v_cmp_gt_f32_e32 vcc_lo, 0x3f2aaaab, v1
	v_subrev_co_ci_u32_e32 v8, vcc_lo, 0, v0, vcc_lo
	v_add_f32_e32 v0, -1.0, v4
	v_cmp_eq_f32_e32 vcc_lo, 0xff800000, v9
	s_delay_alu instid0(VALU_DEP_3) | instskip(SKIP_1) | instid1(VALU_DEP_4)
	v_sub_nc_u32_e32 v1, 0, v8
	v_cvt_f32_i32_e32 v8, v8
	v_sub_f32_e32 v5, v0, v4
	s_delay_alu instid0(VALU_DEP_3) | instskip(NEXT) | instid1(VALU_DEP_2)
	v_ldexp_f32 v4, v4, v1
	v_add_f32_e32 v5, 1.0, v5
	v_sub_f32_e64 v0, -v9, v0
	s_delay_alu instid0(VALU_DEP_3) | instskip(NEXT) | instid1(VALU_DEP_1)
	v_add_f32_e32 v6, 1.0, v4
	v_dual_add_f32 v0, v0, v5 :: v_dual_add_f32 v5, -1.0, v6
	s_delay_alu instid0(VALU_DEP_1) | instskip(SKIP_1) | instid1(VALU_DEP_3)
	v_ldexp_f32 v0, v0, v1
	v_add_f32_e32 v1, -1.0, v4
	v_sub_f32_e32 v5, v4, v5
	s_delay_alu instid0(VALU_DEP_2) | instskip(NEXT) | instid1(VALU_DEP_2)
	v_add_f32_e32 v7, 1.0, v1
	v_add_f32_e32 v5, v0, v5
	s_delay_alu instid0(VALU_DEP_2) | instskip(NEXT) | instid1(VALU_DEP_1)
	v_sub_f32_e32 v4, v4, v7
	v_add_f32_e32 v0, v0, v4
	s_delay_alu instid0(VALU_DEP_1) | instskip(NEXT) | instid1(VALU_DEP_1)
	v_dual_add_f32 v4, v1, v0 :: v_dual_add_f32 v7, v6, v5
	v_sub_f32_e32 v1, v4, v1
	s_delay_alu instid0(VALU_DEP_2) | instskip(SKIP_1) | instid1(VALU_DEP_1)
	v_rcp_f32_e32 v10, v7
	v_sub_f32_e32 v6, v7, v6
	v_dual_sub_f32 v0, v0, v1 :: v_dual_sub_f32 v5, v5, v6
	s_waitcnt_depctr 0xfff
	v_mul_f32_e32 v15, v4, v10
	s_delay_alu instid0(VALU_DEP_1) | instskip(NEXT) | instid1(VALU_DEP_1)
	v_mul_f32_e32 v16, v7, v15
	v_fma_f32 v6, v15, v7, -v16
	s_delay_alu instid0(VALU_DEP_1) | instskip(NEXT) | instid1(VALU_DEP_1)
	v_fmac_f32_e32 v6, v15, v5
	v_add_f32_e32 v17, v16, v6
	s_delay_alu instid0(VALU_DEP_1) | instskip(NEXT) | instid1(VALU_DEP_1)
	v_sub_f32_e32 v25, v4, v17
	v_dual_sub_f32 v1, v17, v16 :: v_dual_sub_f32 v4, v4, v25
	s_delay_alu instid0(VALU_DEP_1) | instskip(NEXT) | instid1(VALU_DEP_1)
	v_dual_sub_f32 v1, v1, v6 :: v_dual_sub_f32 v4, v4, v17
	v_dual_add_f32 v0, v0, v4 :: v_dual_and_b32 v17, 3, v2
	s_delay_alu instid0(VALU_DEP_1) | instskip(SKIP_1) | instid1(VALU_DEP_2)
	v_add_f32_e32 v4, v1, v0
	v_mad_u64_u32 v[0:1], null, 0xcd9e8d57, v13, 0
	v_add_f32_e32 v6, v25, v4
	s_delay_alu instid0(VALU_DEP_1) | instskip(SKIP_2) | instid1(VALU_DEP_3)
	v_mul_f32_e32 v16, v10, v6
	v_sub_f32_e32 v2, v25, v6
	v_lshrrev_b32_e32 v25, 2, v3
	v_mul_f32_e32 v27, v7, v16
	v_add_f32_e32 v36, v15, v16
	s_delay_alu instid0(VALU_DEP_3) | instskip(SKIP_1) | instid1(VALU_DEP_4)
	v_xor3_b32 v1, v11, v1, v25
	v_add_f32_e32 v4, v4, v2
	v_fma_f32 v7, v16, v7, -v27
	s_delay_alu instid0(VALU_DEP_1) | instskip(NEXT) | instid1(VALU_DEP_1)
	v_fmac_f32_e32 v7, v16, v5
	v_add_f32_e32 v5, v27, v7
	s_delay_alu instid0(VALU_DEP_1) | instskip(NEXT) | instid1(VALU_DEP_1)
	v_sub_f32_e32 v29, v6, v5
	v_dual_sub_f32 v3, v6, v29 :: v_dual_sub_f32 v6, v5, v27
	v_add_co_u32 v27, null, 0x78dde6e4, v11
	s_delay_alu instid0(VALU_DEP_2) | instskip(SKIP_2) | instid1(VALU_DEP_3)
	v_dual_sub_f32 v5, v3, v5 :: v_dual_sub_f32 v6, v6, v7
	v_mad_u64_u32 v[2:3], null, 0xd2511f53, v24, 0
	v_sub_f32_e32 v7, v36, v15
	v_add_f32_e32 v4, v4, v5
	s_delay_alu instid0(VALU_DEP_3) | instskip(NEXT) | instid1(VALU_DEP_2)
	v_xor_b32_e32 v5, v3, v12
	v_add_f32_e32 v6, v6, v4
	v_mad_u64_u32 v[3:4], null, 0xd2511f53, v1, 0
	s_delay_alu instid0(VALU_DEP_3) | instskip(NEXT) | instid1(VALU_DEP_3)
	v_xor_b32_e32 v1, v5, v14
	v_add_f32_e32 v15, v29, v6
	v_add_co_u32 v29, null, 0xbb67ae85, v38
	s_delay_alu instid0(VALU_DEP_3) | instskip(SKIP_1) | instid1(VALU_DEP_4)
	v_mad_u64_u32 v[5:6], null, 0xcd9e8d57, v1, 0
	v_sub_f32_e32 v1, v16, v7
	v_mul_f32_e32 v7, v10, v15
	s_delay_alu instid0(VALU_DEP_4) | instskip(NEXT) | instid1(VALU_DEP_4)
	v_xor3_b32 v4, v29, v4, v2
	v_xor3_b32 v0, v23, v6, v0
	s_delay_alu instid0(VALU_DEP_3) | instskip(NEXT) | instid1(VALU_DEP_3)
	v_add_f32_e32 v10, v1, v7
	v_mad_u64_u32 v[1:2], null, 0xcd9e8d57, v4, 0
	s_delay_alu instid0(VALU_DEP_3) | instskip(NEXT) | instid1(VALU_DEP_3)
	v_mad_u64_u32 v[6:7], null, 0xd2511f53, v0, 0
	v_add_f32_e32 v15, v36, v10
	v_mov_b32_e32 v31, v13
	s_delay_alu instid0(VALU_DEP_4) | instskip(NEXT) | instid1(VALU_DEP_3)
	v_xor3_b32 v2, v26, v2, v5
	v_mul_f32_e32 v0, v15, v15
	v_xor3_b32 v7, v32, v7, v3
	s_delay_alu instid0(VALU_DEP_3) | instskip(NEXT) | instid1(VALU_DEP_3)
	v_mad_u64_u32 v[4:5], null, 0xd2511f53, v2, 0
	v_fmaak_f32 v16, s11, v0, 0x3ecc95a3
	s_delay_alu instid0(VALU_DEP_3) | instskip(SKIP_2) | instid1(VALU_DEP_3)
	v_mad_u64_u32 v[2:3], null, 0xcd9e8d57, v7, 0
	v_mul_f32_e32 v35, v15, v0
	s_cselect_b32 s11, -1, 0
	v_fmaak_f32 v0, v0, v16, 0x3f2aaada
	s_cmp_lg_u32 s4, 0
	s_cselect_b32 s27, -1, 0
	s_delay_alu instid0(VALU_DEP_3) | instskip(NEXT) | instid1(VALU_DEP_2)
	v_xor3_b32 v3, v22, v3, v1
	v_mul_f32_e32 v16, v35, v0
	v_xor3_b32 v0, v34, v5, v6
	v_mul_f32_e32 v40, 0x3f317218, v8
	v_ldexp_f32 v7, v15, 1
	v_add_co_u32 v35, null, 0x646e171e, v38
	s_delay_alu instid0(VALU_DEP_4)
	v_mad_u64_u32 v[5:6], null, 0xcd9e8d57, v0, 0
	v_mad_u64_u32 v[0:1], null, 0xd2511f53, v3, 0
	v_fma_f32 v3, 0x3f317218, v8, -v40
	v_sub_f32_e32 v15, v15, v36
	v_add_co_u32 v36, null, 0xed9eba14, v38
	v_xor3_b32 v6, v27, v6, v2
	s_delay_alu instid0(VALU_DEP_4) | instskip(NEXT) | instid1(VALU_DEP_4)
	v_dual_fmamk_f32 v8, v8, 0xb102e308, v3 :: v_dual_add_f32 v39, v7, v16
	v_sub_f32_e32 v10, v10, v15
	s_delay_alu instid0(VALU_DEP_4) | instskip(NEXT) | instid1(VALU_DEP_4)
	v_xor3_b32 v1, v36, v1, v4
	v_mad_u64_u32 v[2:3], null, 0xd2511f53, v6, 0
	s_delay_alu instid0(VALU_DEP_4) | instskip(NEXT) | instid1(VALU_DEP_4)
	v_sub_f32_e32 v7, v39, v7
	v_ldexp_f32 v10, v10, 1
	v_add_co_u32 v38, null, 0x1fd5c5a3, v38
	s_add_u32 s0, s0, 0xf4
	s_delay_alu instid0(VALU_DEP_3)
	v_sub_f32_e32 v7, v16, v7
	v_add_f32_e32 v15, v40, v8
	v_xor3_b32 v3, v37, v3, v0
	s_addc_u32 s1, s1, 0
	s_min_u32 s21, s20, 15
	v_add_f32_e32 v10, v10, v7
	v_mad_u64_u32 v[6:7], null, 0xcd9e8d57, v1, 0
	v_mad_u64_u32 v[0:1], null, 0xcd9e8d57, v3, 0
	s_cmp_gt_u32 s4, 1
	s_cselect_b32 s4, -1, 0
	s_add_i32 s21, s21, 1
	s_delay_alu instid0(VALU_DEP_2) | instskip(SKIP_2) | instid1(VALU_DEP_4)
	v_xor3_b32 v5, v21, v7, v5
	v_sub_f32_e32 v7, v15, v40
	v_add_f32_e32 v16, v39, v10
	v_xor3_b32 v6, v28, v1, v6
	s_lshl_b32 s28, s24, 1
	v_mad_u64_u32 v[3:4], null, 0xd2511f53, v5, 0
	v_sub_f32_e32 v7, v8, v7
	v_sub_f32_e32 v39, v16, v39
	v_add_f32_e32 v41, v15, v16
	s_and_b32 s29, s21, 3
	s_cmp_lg_u32 s20, 2
	v_cmp_gt_f32_e64 s20, 0x33800000, |v9|
	v_sub_f32_e32 v8, v10, v39
	v_sub_f32_e32 v42, v41, v15
	s_cselect_b32 s30, -1, 0
	s_and_b32 s31, s21, 28
	s_cmp_lg_u32 s29, 0
	s_delay_alu instid0(VALU_DEP_1) | instskip(SKIP_1) | instid1(VALU_DEP_1)
	v_sub_f32_e32 v40, v41, v42
	s_cselect_b32 s34, -1, 0
	v_sub_f32_e32 v10, v15, v40
	v_add_f32_e32 v15, v7, v8
	v_dual_sub_f32 v5, v16, v42 :: v_dual_mov_b32 v40, v14
	s_delay_alu instid0(VALU_DEP_1) | instskip(SKIP_2) | instid1(VALU_DEP_3)
	v_dual_sub_f32 v16, v15, v7 :: v_dual_add_f32 v5, v5, v10
	v_xor3_b32 v10, v35, v4, v2
	v_mad_u64_u32 v[1:2], null, 0xd2511f53, v6, 0
	v_sub_f32_e32 v6, v15, v16
	s_delay_alu instid0(VALU_DEP_4) | instskip(NEXT) | instid1(VALU_DEP_4)
	v_dual_add_f32 v39, v15, v5 :: v_dual_sub_f32 v8, v8, v16
	v_mad_u64_u32 v[4:5], null, 0xcd9e8d57, v10, 0
	s_delay_alu instid0(VALU_DEP_3) | instskip(NEXT) | instid1(VALU_DEP_3)
	v_sub_f32_e32 v6, v7, v6
	v_add_f32_e32 v10, v41, v39
	v_xor3_b32 v2, v38, v2, v3
	s_delay_alu instid0(VALU_DEP_3) | instskip(NEXT) | instid1(VALU_DEP_3)
	v_add_f32_e32 v3, v8, v6
	v_sub_f32_e32 v7, v10, v41
	v_xor3_b32 v0, v20, v5, v0
	s_delay_alu instid0(VALU_DEP_4) | instskip(NEXT) | instid1(VALU_DEP_3)
	v_mad_u64_u32 v[5:6], null, 0xcd9e8d57, v2, 0
	v_sub_f32_e32 v15, v39, v7
	s_delay_alu instid0(VALU_DEP_3) | instskip(NEXT) | instid1(VALU_DEP_2)
	v_mad_u64_u32 v[7:8], null, 0xd2511f53, v0, 0
	v_add_f32_e32 v0, v3, v15
	s_delay_alu instid0(VALU_DEP_4) | instskip(NEXT) | instid1(VALU_DEP_3)
	v_xor3_b32 v2, v30, v6, v4
	v_xor3_b32 v6, v33, v8, v1
	s_delay_alu instid0(VALU_DEP_3) | instskip(NEXT) | instid1(VALU_DEP_3)
	v_add_f32_e32 v0, v10, v0
	v_mad_u64_u32 v[3:4], null, 0xd2511f53, v2, 0
	s_delay_alu instid0(VALU_DEP_3) | instskip(NEXT) | instid1(VALU_DEP_3)
	v_mad_u64_u32 v[1:2], null, 0xcd9e8d57, v6, 0
	v_cndmask_b32_e64 v0, v0, -v9, vcc_lo
	v_cmp_nlt_f32_e32 vcc_lo, 1.0, v9
	s_delay_alu instid0(VALU_DEP_2) | instskip(SKIP_1) | instid1(VALU_DEP_2)
	v_cndmask_b32_e32 v0, 0x7fc00000, v0, vcc_lo
	v_cmp_neq_f32_e32 vcc_lo, 1.0, v9
	v_cndmask_b32_e32 v6, 0xff800000, v0, vcc_lo
	v_xor3_b32 v0, v2, v5, v18
	v_xor3_b32 v2, v4, v7, v19
	s_delay_alu instid0(VALU_DEP_3)
	v_cndmask_b32_e64 v39, v6, -v9, s20
	s_branch .LBB7_9
.LBB7_7:                                ;   in Loop: Header=BB7_9 Depth=1
	v_cvt_f32_u32_e32 v0, v3
	s_delay_alu instid0(VALU_DEP_1) | instskip(NEXT) | instid1(VALU_DEP_1)
	v_fmaak_f32 v0, 0x2f800000, v0, 0x2f800000
	v_cmp_gt_f32_e32 vcc_lo, 0x800000, v0
	v_cndmask_b32_e64 v2, 1.0, 0x4f800000, vcc_lo
	s_delay_alu instid0(VALU_DEP_1) | instskip(NEXT) | instid1(VALU_DEP_1)
	v_mul_f32_e32 v0, v0, v2
	v_log_f32_e32 v0, v0
	s_waitcnt_depctr 0xfff
	v_mul_f32_e32 v2, 0x3f317217, v0
	s_delay_alu instid0(VALU_DEP_1) | instskip(NEXT) | instid1(VALU_DEP_1)
	v_fma_f32 v3, 0x3f317217, v0, -v2
	v_fmac_f32_e32 v3, 0x3377d1cf, v0
	s_delay_alu instid0(VALU_DEP_1) | instskip(SKIP_2) | instid1(VALU_DEP_3)
	v_add_f32_e32 v2, v2, v3
	v_cndmask_b32_e64 v3, 0, 0x41b17218, vcc_lo
	v_cmp_gt_f32_e64 vcc_lo, 0x7f800000, |v0|
	v_cndmask_b32_e32 v0, v0, v2, vcc_lo
	s_delay_alu instid0(VALU_DEP_1) | instskip(NEXT) | instid1(VALU_DEP_1)
	v_sub_f32_e32 v0, v0, v3
	v_div_scale_f32 v2, null, v39, v39, v0
	s_delay_alu instid0(VALU_DEP_1) | instskip(SKIP_2) | instid1(VALU_DEP_1)
	v_rcp_f32_e32 v3, v2
	s_waitcnt_depctr 0xfff
	v_fma_f32 v7, -v2, v3, 1.0
	v_fmac_f32_e32 v3, v7, v3
	v_div_scale_f32 v7, vcc_lo, v0, v39, v0
	s_delay_alu instid0(VALU_DEP_1) | instskip(NEXT) | instid1(VALU_DEP_1)
	v_mul_f32_e32 v8, v7, v3
	v_fma_f32 v9, -v2, v8, v7
	s_delay_alu instid0(VALU_DEP_1) | instskip(NEXT) | instid1(VALU_DEP_1)
	v_fmac_f32_e32 v8, v9, v3
	v_fma_f32 v2, -v2, v8, v7
	s_delay_alu instid0(VALU_DEP_1) | instskip(NEXT) | instid1(VALU_DEP_1)
	v_div_fmas_f32 v2, v2, v3, v8
	v_div_fixup_f32 v0, v2, v39, v0
	s_delay_alu instid0(VALU_DEP_1) | instskip(NEXT) | instid1(VALU_DEP_1)
	v_ceil_f32_e32 v0, v0
	v_cvt_i32_f32_e32 v0, v0
	global_store_b8 v1, v0, s[12:13]
.LBB7_8:                                ;   in Loop: Header=BB7_9 Depth=1
	s_or_b32 exec_lo, exec_lo, s35
	v_add_co_u32 v13, vcc_lo, v13, s25
	v_add_co_ci_u32_e32 v14, vcc_lo, 0, v14, vcc_lo
	v_mov_b32_e32 v7, v15
	v_dual_mov_b32 v0, v4 :: v_dual_mov_b32 v1, v5
	s_delay_alu instid0(VALU_DEP_3) | instskip(NEXT) | instid1(VALU_DEP_3)
	v_cmp_le_i64_e32 vcc_lo, s[2:3], v[13:14]
	v_dual_mov_b32 v2, v6 :: v_dual_mov_b32 v3, v7
	s_waitcnt lgkmcnt(0)
	s_waitcnt_vscnt null, 0x0
	s_barrier
	buffer_gl0_inv
	s_or_b32 s26, vcc_lo, s26
	s_delay_alu instid0(SALU_CYCLE_1)
	s_and_not1_b32 exec_lo, exec_lo, s26
	s_cbranch_execz .LBB7_78
.LBB7_9:                                ; =>This Loop Header: Depth=1
                                        ;     Child Loop BB7_24 Depth 2
                                        ;     Child Loop BB7_29 Depth 2
	;; [unrolled: 1-line block ×8, first 2 shown]
	v_add_co_u32 v24, vcc_lo, v24, 1
	s_delay_alu instid0(VALU_DEP_1) | instskip(SKIP_2) | instid1(VALU_DEP_1)
	v_cndmask_b32_e64 v4, 0, 1, vcc_lo
	v_add_co_ci_u32_e32 v25, vcc_lo, 0, v25, vcc_lo
	s_mov_b32 s20, exec_lo
	v_cmp_eq_u32_e32 vcc_lo, 0, v25
	s_delay_alu instid0(VALU_DEP_3) | instskip(NEXT) | instid1(VALU_DEP_1)
	v_cndmask_b32_e32 v4, 0, v4, vcc_lo
	v_add_nc_u32_e32 v31, v4, v31
	s_delay_alu instid0(VALU_DEP_1) | instskip(SKIP_2) | instid1(VALU_DEP_2)
	v_cmp_eq_u32_e32 vcc_lo, 0, v31
	v_cndmask_b32_e32 v4, 0, v4, vcc_lo
	v_mad_u64_u32 v[6:7], null, 0xcd9e8d57, v31, 0
	v_add_nc_u32_e32 v40, v4, v40
	v_mad_u64_u32 v[4:5], null, 0xd2511f53, v24, 0
	s_delay_alu instid0(VALU_DEP_3) | instskip(NEXT) | instid1(VALU_DEP_2)
	v_xor3_b32 v9, v7, v11, v25
	v_xor_b32_e32 v5, v5, v12
	s_delay_alu instid0(VALU_DEP_2) | instskip(NEXT) | instid1(VALU_DEP_2)
	v_mad_u64_u32 v[7:8], null, 0xd2511f53, v9, 0
	v_xor_b32_e32 v5, v40, v5
	s_delay_alu instid0(VALU_DEP_2) | instskip(NEXT) | instid1(VALU_DEP_2)
	v_xor3_b32 v8, v29, v8, v4
	v_mad_u64_u32 v[9:10], null, 0xcd9e8d57, v5, 0
	s_delay_alu instid0(VALU_DEP_2) | instskip(NEXT) | instid1(VALU_DEP_2)
	v_mad_u64_u32 v[4:5], null, 0xcd9e8d57, v8, 0
	v_xor3_b32 v6, v23, v10, v6
	s_delay_alu instid0(VALU_DEP_2) | instskip(NEXT) | instid1(VALU_DEP_2)
	v_xor3_b32 v8, v26, v5, v9
	v_mad_u64_u32 v[15:16], null, 0xd2511f53, v6, 0
	s_delay_alu instid0(VALU_DEP_2) | instskip(NEXT) | instid1(VALU_DEP_2)
	v_mad_u64_u32 v[5:6], null, 0xd2511f53, v8, 0
	v_xor3_b32 v9, v32, v16, v7
	s_delay_alu instid0(VALU_DEP_2) | instskip(NEXT) | instid1(VALU_DEP_2)
	v_xor3_b32 v6, v34, v6, v15
	v_mad_u64_u32 v[7:8], null, 0xcd9e8d57, v9, 0
	s_delay_alu instid0(VALU_DEP_1) | instskip(NEXT) | instid1(VALU_DEP_3)
	v_xor3_b32 v4, v22, v8, v4
	v_mad_u64_u32 v[8:9], null, 0xcd9e8d57, v6, 0
	s_delay_alu instid0(VALU_DEP_2) | instskip(NEXT) | instid1(VALU_DEP_2)
	v_mad_u64_u32 v[15:16], null, 0xd2511f53, v4, 0
	v_xor3_b32 v6, v27, v9, v7
	s_delay_alu instid0(VALU_DEP_2) | instskip(NEXT) | instid1(VALU_DEP_2)
	v_xor3_b32 v9, v36, v16, v5
	v_mad_u64_u32 v[4:5], null, 0xd2511f53, v6, 0
	s_delay_alu instid0(VALU_DEP_2) | instskip(NEXT) | instid1(VALU_DEP_2)
	v_mad_u64_u32 v[6:7], null, 0xcd9e8d57, v9, 0
	v_xor3_b32 v5, v37, v5, v15
	s_delay_alu instid0(VALU_DEP_2) | instskip(NEXT) | instid1(VALU_DEP_2)
	;; [unrolled: 6-line block ×6, first 2 shown]
	v_xor3_b32 v4, v6, v7, v18
	v_mov_b32_e32 v6, v10
	v_cmpx_lt_i32_e32 1, v17
	s_xor_b32 s20, exec_lo, s20
	s_cbranch_execnz .LBB7_12
; %bb.10:                               ;   in Loop: Header=BB7_9 Depth=1
	s_and_not1_saveexec_b32 s20, s20
	s_cbranch_execnz .LBB7_17
.LBB7_11:                               ;   in Loop: Header=BB7_9 Depth=1
	s_or_b32 exec_lo, exec_lo, s20
	s_delay_alu instid0(SALU_CYCLE_1)
	s_mov_b32 s35, exec_lo
	v_cmpx_gt_i64_e64 s[16:17], v[13:14]
	s_cbranch_execnz .LBB7_20
	s_branch .LBB7_34
.LBB7_12:                               ;   in Loop: Header=BB7_9 Depth=1
	s_mov_b32 s21, exec_lo
	v_cmpx_lt_i32_e32 2, v17
	s_xor_b32 s21, exec_lo, s21
; %bb.13:                               ;   in Loop: Header=BB7_9 Depth=1
	v_dual_mov_b32 v7, v3 :: v_dual_mov_b32 v8, v4
	v_mov_b32_e32 v9, v5
	s_delay_alu instid0(VALU_DEP_2) | instskip(NEXT) | instid1(VALU_DEP_2)
	v_dual_mov_b32 v0, v7 :: v_dual_mov_b32 v1, v8
	v_dual_mov_b32 v2, v9 :: v_dual_mov_b32 v3, v10
; %bb.14:                               ;   in Loop: Header=BB7_9 Depth=1
	s_and_not1_saveexec_b32 s21, s21
; %bb.15:                               ;   in Loop: Header=BB7_9 Depth=1
	s_delay_alu instid0(VALU_DEP_1)
	v_dual_mov_b32 v0, v2 :: v_dual_mov_b32 v1, v3
	v_dual_mov_b32 v2, v4 :: v_dual_mov_b32 v3, v5
; %bb.16:                               ;   in Loop: Header=BB7_9 Depth=1
	s_or_b32 exec_lo, exec_lo, s21
	s_and_not1_saveexec_b32 s20, s20
	s_cbranch_execz .LBB7_11
.LBB7_17:                               ;   in Loop: Header=BB7_9 Depth=1
	s_mov_b32 s21, exec_lo
	v_cmpx_eq_u32_e32 1, v17
; %bb.18:                               ;   in Loop: Header=BB7_9 Depth=1
	v_dual_mov_b32 v0, v1 :: v_dual_mov_b32 v1, v2
	v_dual_mov_b32 v2, v3 :: v_dual_mov_b32 v3, v4
; %bb.19:                               ;   in Loop: Header=BB7_9 Depth=1
	s_or_b32 exec_lo, exec_lo, s21
	s_delay_alu instid0(SALU_CYCLE_1) | instskip(NEXT) | instid1(SALU_CYCLE_1)
	s_or_b32 exec_lo, exec_lo, s20
	s_mov_b32 s35, exec_lo
	v_cmpx_gt_i64_e64 s[16:17], v[13:14]
	s_cbranch_execz .LBB7_34
.LBB7_20:                               ;   in Loop: Header=BB7_9 Depth=1
	s_and_not1_b32 vcc_lo, exec_lo, s11
	s_cbranch_vccnz .LBB7_26
; %bb.21:                               ;   in Loop: Header=BB7_9 Depth=1
	v_mov_b32_e32 v7, 0
	s_and_not1_b32 vcc_lo, exec_lo, s27
	s_cbranch_vccnz .LBB7_30
; %bb.22:                               ;   in Loop: Header=BB7_9 Depth=1
	s_and_not1_b32 vcc_lo, exec_lo, s30
	s_mov_b32 s20, 0
	s_cbranch_vccnz .LBB7_27
; %bb.23:                               ;   in Loop: Header=BB7_9 Depth=1
	v_dual_mov_b32 v7, 0 :: v_dual_mov_b32 v8, v13
	s_mov_b32 s36, 0
	s_mov_b64 s[20:21], s[18:19]
	s_mov_b64 s[22:23], s[0:1]
.LBB7_24:                               ;   Parent Loop BB7_9 Depth=1
                                        ; =>  This Inner Loop Header: Depth=2
	s_clause 0x1
	s_load_b256 s[40:47], s[20:21], 0x4
	s_load_b128 s[48:51], s[20:21], 0x24
	s_load_b128 s[52:55], s[22:23], 0x0
	s_add_u32 s20, s20, 48
	s_addc_u32 s21, s21, 0
	s_add_i32 s36, s36, 4
	s_add_u32 s22, s22, 16
	s_addc_u32 s23, s23, 0
	s_cmp_lg_u32 s31, s36
	s_waitcnt lgkmcnt(0)
	v_mul_hi_u32 v9, s41, v8
	s_delay_alu instid0(VALU_DEP_1) | instskip(NEXT) | instid1(VALU_DEP_1)
	v_add_nc_u32_e32 v9, v8, v9
	v_lshrrev_b32_e32 v9, s42, v9
	s_delay_alu instid0(VALU_DEP_1) | instskip(SKIP_1) | instid1(VALU_DEP_2)
	v_mul_hi_u32 v10, s44, v9
	v_mul_lo_u32 v42, v9, s40
	v_add_nc_u32_e32 v10, v9, v10
	s_delay_alu instid0(VALU_DEP_2) | instskip(NEXT) | instid1(VALU_DEP_2)
	v_sub_nc_u32_e32 v42, v8, v42
	v_lshrrev_b32_e32 v10, s45, v10
	s_delay_alu instid0(VALU_DEP_2) | instskip(NEXT) | instid1(VALU_DEP_2)
	v_mul_lo_u32 v42, v42, s52
	v_mul_hi_u32 v16, s47, v10
	v_mul_lo_u32 v43, v10, s43
	s_delay_alu instid0(VALU_DEP_2) | instskip(NEXT) | instid1(VALU_DEP_2)
	v_add_nc_u32_e32 v16, v10, v16
	v_sub_nc_u32_e32 v9, v9, v43
	s_delay_alu instid0(VALU_DEP_2) | instskip(NEXT) | instid1(VALU_DEP_2)
	v_lshrrev_b32_e32 v16, s48, v16
	v_mul_lo_u32 v9, v9, s53
	s_delay_alu instid0(VALU_DEP_2) | instskip(NEXT) | instid1(VALU_DEP_2)
	v_mul_hi_u32 v41, s50, v16
	v_add3_u32 v7, v42, v7, v9
	s_delay_alu instid0(VALU_DEP_2) | instskip(NEXT) | instid1(VALU_DEP_1)
	v_add_nc_u32_e32 v41, v16, v41
	v_lshrrev_b32_e32 v8, s51, v41
	v_mul_lo_u32 v41, v16, s46
	s_delay_alu instid0(VALU_DEP_2) | instskip(NEXT) | instid1(VALU_DEP_2)
	v_mul_lo_u32 v44, v8, s49
	v_sub_nc_u32_e32 v10, v10, v41
	s_delay_alu instid0(VALU_DEP_2) | instskip(NEXT) | instid1(VALU_DEP_2)
	v_sub_nc_u32_e32 v16, v16, v44
	v_mul_lo_u32 v10, v10, s54
	s_delay_alu instid0(VALU_DEP_2) | instskip(NEXT) | instid1(VALU_DEP_1)
	v_mul_lo_u32 v16, v16, s55
	v_add3_u32 v7, v10, v7, v16
	s_cbranch_scc1 .LBB7_24
; %bb.25:                               ;   in Loop: Header=BB7_9 Depth=1
	s_mov_b32 s20, s31
	s_and_not1_b32 vcc_lo, exec_lo, s34
	s_cbranch_vccz .LBB7_28
	s_branch .LBB7_30
.LBB7_26:                               ;   in Loop: Header=BB7_9 Depth=1
                                        ; implicit-def: $vgpr7
	s_branch .LBB7_31
.LBB7_27:                               ;   in Loop: Header=BB7_9 Depth=1
	v_mov_b32_e32 v8, v13
	s_and_not1_b32 vcc_lo, exec_lo, s34
	s_cbranch_vccnz .LBB7_30
.LBB7_28:                               ;   in Loop: Header=BB7_9 Depth=1
	s_lshl_b32 s21, s20, 2
	s_mul_i32 s22, s20, 12
	s_add_u32 s20, s0, s21
	s_addc_u32 s21, s1, 0
	s_add_u32 s22, s18, s22
	s_addc_u32 s23, s19, 0
	s_mov_b32 s36, s29
	.p2align	6
.LBB7_29:                               ;   Parent Loop BB7_9 Depth=1
                                        ; =>  This Inner Loop Header: Depth=2
	s_clause 0x1
	s_load_b64 s[38:39], s[22:23], 0x4
	s_load_b32 s37, s[22:23], 0xc
	s_add_u32 s22, s22, 12
	s_addc_u32 s23, s23, 0
	s_waitcnt lgkmcnt(0)
	v_mul_hi_u32 v9, s39, v8
	s_load_b32 s39, s[20:21], 0x0
	s_add_u32 s20, s20, 4
	s_addc_u32 s21, s21, 0
	s_add_i32 s36, s36, -1
	s_delay_alu instid0(SALU_CYCLE_1) | instskip(NEXT) | instid1(VALU_DEP_1)
	s_cmp_lg_u32 s36, 0
	v_add_nc_u32_e32 v9, v8, v9
	s_delay_alu instid0(VALU_DEP_1) | instskip(NEXT) | instid1(VALU_DEP_1)
	v_lshrrev_b32_e32 v16, s37, v9
	v_mul_lo_u32 v9, v16, s38
	s_delay_alu instid0(VALU_DEP_1) | instskip(SKIP_1) | instid1(VALU_DEP_1)
	v_sub_nc_u32_e32 v8, v8, v9
	s_waitcnt lgkmcnt(0)
	v_mad_u64_u32 v[9:10], null, v8, s39, v[7:8]
	s_delay_alu instid0(VALU_DEP_1)
	v_dual_mov_b32 v8, v16 :: v_dual_mov_b32 v7, v9
	s_cbranch_scc1 .LBB7_29
.LBB7_30:                               ;   in Loop: Header=BB7_9 Depth=1
	s_cbranch_execnz .LBB7_33
.LBB7_31:                               ;   in Loop: Header=BB7_9 Depth=1
	v_mul_hi_u32 v7, v13, s6
	s_and_not1_b32 vcc_lo, exec_lo, s4
	s_delay_alu instid0(VALU_DEP_1) | instskip(NEXT) | instid1(VALU_DEP_1)
	v_add_nc_u32_e32 v7, v7, v13
	v_lshrrev_b32_e32 v8, s7, v7
	s_delay_alu instid0(VALU_DEP_1) | instskip(NEXT) | instid1(VALU_DEP_1)
	v_mul_lo_u32 v7, v8, s5
	v_sub_nc_u32_e32 v7, v13, v7
	s_waitcnt lgkmcnt(0)
	s_delay_alu instid0(VALU_DEP_1)
	v_mul_lo_u32 v7, v7, s14
	s_cbranch_vccnz .LBB7_33
; %bb.32:                               ;   in Loop: Header=BB7_9 Depth=1
	v_mul_hi_u32 v9, s9, v8
	s_delay_alu instid0(VALU_DEP_1) | instskip(NEXT) | instid1(VALU_DEP_1)
	v_add_nc_u32_e32 v9, v8, v9
	v_lshrrev_b32_e32 v9, s10, v9
	s_delay_alu instid0(VALU_DEP_1) | instskip(NEXT) | instid1(VALU_DEP_1)
	v_mul_lo_u32 v9, v9, s8
	v_sub_nc_u32_e32 v10, v8, v9
	s_delay_alu instid0(VALU_DEP_1) | instskip(NEXT) | instid1(VALU_DEP_1)
	v_mad_u64_u32 v[8:9], null, v10, s15, v[7:8]
	v_mov_b32_e32 v7, v8
.LBB7_33:                               ;   in Loop: Header=BB7_9 Depth=1
	v_cvt_f32_u32_e32 v0, v0
	s_delay_alu instid0(VALU_DEP_1) | instskip(NEXT) | instid1(VALU_DEP_1)
	v_fmaak_f32 v0, 0x2f800000, v0, 0x2f800000
	v_cmp_gt_f32_e32 vcc_lo, 0x800000, v0
	v_cndmask_b32_e64 v8, 1.0, 0x4f800000, vcc_lo
	s_delay_alu instid0(VALU_DEP_1) | instskip(NEXT) | instid1(VALU_DEP_1)
	v_mul_f32_e32 v0, v0, v8
	v_log_f32_e32 v0, v0
	s_waitcnt_depctr 0xfff
	v_mul_f32_e32 v8, 0x3f317217, v0
	s_delay_alu instid0(VALU_DEP_1) | instskip(NEXT) | instid1(VALU_DEP_1)
	v_fma_f32 v9, 0x3f317217, v0, -v8
	v_fmac_f32_e32 v9, 0x3377d1cf, v0
	s_delay_alu instid0(VALU_DEP_1) | instskip(SKIP_2) | instid1(VALU_DEP_3)
	v_add_f32_e32 v8, v8, v9
	v_cndmask_b32_e64 v9, 0, 0x41b17218, vcc_lo
	v_cmp_gt_f32_e64 vcc_lo, 0x7f800000, |v0|
	v_cndmask_b32_e32 v0, v0, v8, vcc_lo
	s_delay_alu instid0(VALU_DEP_1) | instskip(NEXT) | instid1(VALU_DEP_1)
	v_sub_f32_e32 v0, v0, v9
	v_div_scale_f32 v8, null, v39, v39, v0
	s_delay_alu instid0(VALU_DEP_1) | instskip(SKIP_2) | instid1(VALU_DEP_1)
	v_rcp_f32_e32 v9, v8
	s_waitcnt_depctr 0xfff
	v_fma_f32 v10, -v8, v9, 1.0
	v_fmac_f32_e32 v9, v10, v9
	v_div_scale_f32 v10, vcc_lo, v0, v39, v0
	s_delay_alu instid0(VALU_DEP_1) | instskip(NEXT) | instid1(VALU_DEP_1)
	v_mul_f32_e32 v16, v10, v9
	v_fma_f32 v41, -v8, v16, v10
	s_delay_alu instid0(VALU_DEP_1) | instskip(NEXT) | instid1(VALU_DEP_1)
	v_fmac_f32_e32 v16, v41, v9
	v_fma_f32 v8, -v8, v16, v10
	s_delay_alu instid0(VALU_DEP_1) | instskip(NEXT) | instid1(VALU_DEP_1)
	v_div_fmas_f32 v8, v8, v9, v16
	v_div_fixup_f32 v0, v8, v39, v0
	s_delay_alu instid0(VALU_DEP_1) | instskip(NEXT) | instid1(VALU_DEP_1)
	v_ceil_f32_e32 v0, v0
	v_cvt_i32_f32_e32 v0, v0
	global_store_b8 v7, v0, s[12:13]
.LBB7_34:                               ;   in Loop: Header=BB7_9 Depth=1
	s_or_b32 exec_lo, exec_lo, s35
	v_add_co_u32 v7, vcc_lo, v13, s24
	v_add_co_ci_u32_e32 v8, vcc_lo, 0, v14, vcc_lo
	s_mov_b32 s35, exec_lo
	s_delay_alu instid0(VALU_DEP_1)
	v_cmpx_gt_i64_e64 s[16:17], v[7:8]
	s_cbranch_execz .LBB7_49
; %bb.35:                               ;   in Loop: Header=BB7_9 Depth=1
	s_and_not1_b32 vcc_lo, exec_lo, s11
	s_cbranch_vccnz .LBB7_41
; %bb.36:                               ;   in Loop: Header=BB7_9 Depth=1
	v_mov_b32_e32 v0, 0
	s_and_not1_b32 vcc_lo, exec_lo, s27
	s_cbranch_vccnz .LBB7_45
; %bb.37:                               ;   in Loop: Header=BB7_9 Depth=1
	s_and_not1_b32 vcc_lo, exec_lo, s30
	s_mov_b32 s20, 0
	s_cbranch_vccnz .LBB7_42
; %bb.38:                               ;   in Loop: Header=BB7_9 Depth=1
	v_mov_b32_e32 v0, 0
	v_mov_b32_e32 v8, v7
	s_mov_b32 s36, 0
	s_mov_b64 s[20:21], s[18:19]
	s_mov_b64 s[22:23], s[0:1]
.LBB7_39:                               ;   Parent Loop BB7_9 Depth=1
                                        ; =>  This Inner Loop Header: Depth=2
	s_clause 0x1
	s_load_b256 s[40:47], s[20:21], 0x4
	s_load_b128 s[48:51], s[20:21], 0x24
	s_load_b128 s[52:55], s[22:23], 0x0
	s_add_u32 s20, s20, 48
	s_addc_u32 s21, s21, 0
	s_add_i32 s36, s36, 4
	s_add_u32 s22, s22, 16
	s_addc_u32 s23, s23, 0
	s_cmp_eq_u32 s31, s36
	s_waitcnt lgkmcnt(0)
	v_mul_hi_u32 v9, s41, v8
	s_delay_alu instid0(VALU_DEP_1) | instskip(NEXT) | instid1(VALU_DEP_1)
	v_add_nc_u32_e32 v9, v8, v9
	v_lshrrev_b32_e32 v9, s42, v9
	s_delay_alu instid0(VALU_DEP_1) | instskip(SKIP_1) | instid1(VALU_DEP_2)
	v_mul_hi_u32 v10, s44, v9
	v_mul_lo_u32 v42, v9, s40
	v_add_nc_u32_e32 v10, v9, v10
	s_delay_alu instid0(VALU_DEP_2) | instskip(NEXT) | instid1(VALU_DEP_2)
	v_sub_nc_u32_e32 v42, v8, v42
	v_lshrrev_b32_e32 v10, s45, v10
	s_delay_alu instid0(VALU_DEP_2) | instskip(NEXT) | instid1(VALU_DEP_2)
	v_mul_lo_u32 v42, v42, s52
	v_mul_hi_u32 v16, s47, v10
	v_mul_lo_u32 v43, v10, s43
	s_delay_alu instid0(VALU_DEP_2) | instskip(NEXT) | instid1(VALU_DEP_2)
	v_add_nc_u32_e32 v16, v10, v16
	v_sub_nc_u32_e32 v9, v9, v43
	s_delay_alu instid0(VALU_DEP_2) | instskip(NEXT) | instid1(VALU_DEP_2)
	v_lshrrev_b32_e32 v16, s48, v16
	v_mul_lo_u32 v9, v9, s53
	s_delay_alu instid0(VALU_DEP_2) | instskip(NEXT) | instid1(VALU_DEP_2)
	v_mul_hi_u32 v41, s50, v16
	v_add3_u32 v0, v42, v0, v9
	s_delay_alu instid0(VALU_DEP_2) | instskip(NEXT) | instid1(VALU_DEP_1)
	v_add_nc_u32_e32 v41, v16, v41
	v_lshrrev_b32_e32 v8, s51, v41
	v_mul_lo_u32 v41, v16, s46
	s_delay_alu instid0(VALU_DEP_2) | instskip(NEXT) | instid1(VALU_DEP_2)
	v_mul_lo_u32 v44, v8, s49
	v_sub_nc_u32_e32 v10, v10, v41
	s_delay_alu instid0(VALU_DEP_2) | instskip(NEXT) | instid1(VALU_DEP_2)
	v_sub_nc_u32_e32 v16, v16, v44
	v_mul_lo_u32 v10, v10, s54
	s_delay_alu instid0(VALU_DEP_2) | instskip(NEXT) | instid1(VALU_DEP_1)
	v_mul_lo_u32 v16, v16, s55
	v_add3_u32 v0, v10, v0, v16
	s_cbranch_scc0 .LBB7_39
; %bb.40:                               ;   in Loop: Header=BB7_9 Depth=1
	s_mov_b32 s20, s31
	s_and_not1_b32 vcc_lo, exec_lo, s34
	s_cbranch_vccz .LBB7_43
	s_branch .LBB7_45
.LBB7_41:                               ;   in Loop: Header=BB7_9 Depth=1
                                        ; implicit-def: $vgpr0
	s_branch .LBB7_46
.LBB7_42:                               ;   in Loop: Header=BB7_9 Depth=1
	v_mov_b32_e32 v8, v7
	s_and_not1_b32 vcc_lo, exec_lo, s34
	s_cbranch_vccnz .LBB7_45
.LBB7_43:                               ;   in Loop: Header=BB7_9 Depth=1
	s_lshl_b32 s21, s20, 2
	s_mul_i32 s22, s20, 12
	s_add_u32 s20, s0, s21
	s_addc_u32 s21, s1, 0
	s_add_u32 s22, s18, s22
	s_addc_u32 s23, s19, 0
	s_mov_b32 s36, s29
	.p2align	6
.LBB7_44:                               ;   Parent Loop BB7_9 Depth=1
                                        ; =>  This Inner Loop Header: Depth=2
	s_clause 0x1
	s_load_b64 s[38:39], s[22:23], 0x4
	s_load_b32 s37, s[22:23], 0xc
	s_add_u32 s22, s22, 12
	s_addc_u32 s23, s23, 0
	s_waitcnt lgkmcnt(0)
	v_mul_hi_u32 v9, s39, v8
	s_load_b32 s39, s[20:21], 0x0
	s_add_u32 s20, s20, 4
	s_addc_u32 s21, s21, 0
	s_add_i32 s36, s36, -1
	s_delay_alu instid0(SALU_CYCLE_1) | instskip(NEXT) | instid1(VALU_DEP_1)
	s_cmp_lg_u32 s36, 0
	v_add_nc_u32_e32 v9, v8, v9
	s_delay_alu instid0(VALU_DEP_1) | instskip(NEXT) | instid1(VALU_DEP_1)
	v_lshrrev_b32_e32 v16, s37, v9
	v_mul_lo_u32 v9, v16, s38
	s_delay_alu instid0(VALU_DEP_1) | instskip(SKIP_1) | instid1(VALU_DEP_1)
	v_sub_nc_u32_e32 v8, v8, v9
	s_waitcnt lgkmcnt(0)
	v_mad_u64_u32 v[9:10], null, v8, s39, v[0:1]
	v_mov_b32_e32 v8, v16
	s_delay_alu instid0(VALU_DEP_2)
	v_mov_b32_e32 v0, v9
	s_cbranch_scc1 .LBB7_44
.LBB7_45:                               ;   in Loop: Header=BB7_9 Depth=1
	s_cbranch_execnz .LBB7_48
.LBB7_46:                               ;   in Loop: Header=BB7_9 Depth=1
	v_mul_hi_u32 v0, v7, s6
	s_and_not1_b32 vcc_lo, exec_lo, s4
	s_delay_alu instid0(VALU_DEP_1) | instskip(NEXT) | instid1(VALU_DEP_1)
	v_add_nc_u32_e32 v0, v0, v7
	v_lshrrev_b32_e32 v8, s7, v0
	s_delay_alu instid0(VALU_DEP_1) | instskip(NEXT) | instid1(VALU_DEP_1)
	v_mul_lo_u32 v0, v8, s5
	v_sub_nc_u32_e32 v0, v7, v0
	s_waitcnt lgkmcnt(0)
	s_delay_alu instid0(VALU_DEP_1)
	v_mul_lo_u32 v0, v0, s14
	s_cbranch_vccnz .LBB7_48
; %bb.47:                               ;   in Loop: Header=BB7_9 Depth=1
	v_mul_hi_u32 v7, s9, v8
	s_delay_alu instid0(VALU_DEP_1) | instskip(NEXT) | instid1(VALU_DEP_1)
	v_add_nc_u32_e32 v7, v8, v7
	v_lshrrev_b32_e32 v7, s10, v7
	s_delay_alu instid0(VALU_DEP_1) | instskip(NEXT) | instid1(VALU_DEP_1)
	v_mul_lo_u32 v7, v7, s8
	v_sub_nc_u32_e32 v9, v8, v7
	s_delay_alu instid0(VALU_DEP_1) | instskip(NEXT) | instid1(VALU_DEP_1)
	v_mad_u64_u32 v[7:8], null, v9, s15, v[0:1]
	v_mov_b32_e32 v0, v7
.LBB7_48:                               ;   in Loop: Header=BB7_9 Depth=1
	v_cvt_f32_u32_e32 v1, v1
	s_delay_alu instid0(VALU_DEP_1) | instskip(NEXT) | instid1(VALU_DEP_1)
	v_fmaak_f32 v1, 0x2f800000, v1, 0x2f800000
	v_cmp_gt_f32_e32 vcc_lo, 0x800000, v1
	v_cndmask_b32_e64 v7, 1.0, 0x4f800000, vcc_lo
	s_delay_alu instid0(VALU_DEP_1) | instskip(NEXT) | instid1(VALU_DEP_1)
	v_mul_f32_e32 v1, v1, v7
	v_log_f32_e32 v1, v1
	s_waitcnt_depctr 0xfff
	v_mul_f32_e32 v7, 0x3f317217, v1
	s_delay_alu instid0(VALU_DEP_1) | instskip(NEXT) | instid1(VALU_DEP_1)
	v_fma_f32 v8, 0x3f317217, v1, -v7
	v_fmac_f32_e32 v8, 0x3377d1cf, v1
	s_delay_alu instid0(VALU_DEP_1) | instskip(SKIP_2) | instid1(VALU_DEP_3)
	v_add_f32_e32 v7, v7, v8
	v_cndmask_b32_e64 v8, 0, 0x41b17218, vcc_lo
	v_cmp_gt_f32_e64 vcc_lo, 0x7f800000, |v1|
	v_cndmask_b32_e32 v1, v1, v7, vcc_lo
	s_delay_alu instid0(VALU_DEP_1) | instskip(NEXT) | instid1(VALU_DEP_1)
	v_sub_f32_e32 v1, v1, v8
	v_div_scale_f32 v7, null, v39, v39, v1
	s_delay_alu instid0(VALU_DEP_1) | instskip(SKIP_2) | instid1(VALU_DEP_1)
	v_rcp_f32_e32 v8, v7
	s_waitcnt_depctr 0xfff
	v_fma_f32 v9, -v7, v8, 1.0
	v_fmac_f32_e32 v8, v9, v8
	v_div_scale_f32 v9, vcc_lo, v1, v39, v1
	s_delay_alu instid0(VALU_DEP_1) | instskip(NEXT) | instid1(VALU_DEP_1)
	v_mul_f32_e32 v10, v9, v8
	v_fma_f32 v16, -v7, v10, v9
	s_delay_alu instid0(VALU_DEP_1) | instskip(NEXT) | instid1(VALU_DEP_1)
	v_fmac_f32_e32 v10, v16, v8
	v_fma_f32 v7, -v7, v10, v9
	s_delay_alu instid0(VALU_DEP_1) | instskip(NEXT) | instid1(VALU_DEP_1)
	v_div_fmas_f32 v7, v7, v8, v10
	v_div_fixup_f32 v1, v7, v39, v1
	s_delay_alu instid0(VALU_DEP_1) | instskip(NEXT) | instid1(VALU_DEP_1)
	v_ceil_f32_e32 v1, v1
	v_cvt_i32_f32_e32 v1, v1
	global_store_b8 v0, v1, s[12:13]
.LBB7_49:                               ;   in Loop: Header=BB7_9 Depth=1
	s_or_b32 exec_lo, exec_lo, s35
	v_add_co_u32 v0, vcc_lo, v13, s28
	v_add_co_ci_u32_e32 v1, vcc_lo, 0, v14, vcc_lo
	s_mov_b32 s35, exec_lo
	s_delay_alu instid0(VALU_DEP_1)
	v_cmpx_gt_i64_e64 s[16:17], v[0:1]
	s_cbranch_execz .LBB7_64
; %bb.50:                               ;   in Loop: Header=BB7_9 Depth=1
	s_and_not1_b32 vcc_lo, exec_lo, s11
	s_cbranch_vccnz .LBB7_56
; %bb.51:                               ;   in Loop: Header=BB7_9 Depth=1
	v_mov_b32_e32 v1, 0
	s_and_not1_b32 vcc_lo, exec_lo, s27
	s_cbranch_vccnz .LBB7_60
; %bb.52:                               ;   in Loop: Header=BB7_9 Depth=1
	s_and_not1_b32 vcc_lo, exec_lo, s30
	s_mov_b32 s20, 0
	s_cbranch_vccnz .LBB7_57
; %bb.53:                               ;   in Loop: Header=BB7_9 Depth=1
	v_mov_b32_e32 v1, 0
	v_mov_b32_e32 v7, v0
	s_mov_b32 s36, 0
	s_mov_b64 s[20:21], s[18:19]
	s_mov_b64 s[22:23], s[0:1]
.LBB7_54:                               ;   Parent Loop BB7_9 Depth=1
                                        ; =>  This Inner Loop Header: Depth=2
	s_clause 0x1
	s_load_b256 s[40:47], s[20:21], 0x4
	s_load_b128 s[48:51], s[20:21], 0x24
	s_load_b128 s[52:55], s[22:23], 0x0
	s_add_u32 s20, s20, 48
	s_addc_u32 s21, s21, 0
	s_add_i32 s36, s36, 4
	s_add_u32 s22, s22, 16
	s_addc_u32 s23, s23, 0
	s_cmp_eq_u32 s31, s36
	s_waitcnt lgkmcnt(0)
	v_mul_hi_u32 v8, s41, v7
	s_delay_alu instid0(VALU_DEP_1) | instskip(NEXT) | instid1(VALU_DEP_1)
	v_add_nc_u32_e32 v8, v7, v8
	v_lshrrev_b32_e32 v8, s42, v8
	s_delay_alu instid0(VALU_DEP_1) | instskip(SKIP_1) | instid1(VALU_DEP_2)
	v_mul_hi_u32 v9, s44, v8
	v_mul_lo_u32 v41, v8, s40
	v_add_nc_u32_e32 v9, v8, v9
	s_delay_alu instid0(VALU_DEP_2) | instskip(NEXT) | instid1(VALU_DEP_2)
	v_sub_nc_u32_e32 v41, v7, v41
	v_lshrrev_b32_e32 v9, s45, v9
	s_delay_alu instid0(VALU_DEP_2) | instskip(NEXT) | instid1(VALU_DEP_2)
	v_mul_lo_u32 v41, v41, s52
	v_mul_hi_u32 v10, s47, v9
	v_mul_lo_u32 v42, v9, s43
	s_delay_alu instid0(VALU_DEP_2) | instskip(NEXT) | instid1(VALU_DEP_2)
	v_add_nc_u32_e32 v10, v9, v10
	v_sub_nc_u32_e32 v8, v8, v42
	s_delay_alu instid0(VALU_DEP_2) | instskip(NEXT) | instid1(VALU_DEP_2)
	v_lshrrev_b32_e32 v10, s48, v10
	v_mul_lo_u32 v8, v8, s53
	s_delay_alu instid0(VALU_DEP_2) | instskip(NEXT) | instid1(VALU_DEP_2)
	v_mul_hi_u32 v16, s50, v10
	v_add3_u32 v1, v41, v1, v8
	s_delay_alu instid0(VALU_DEP_2) | instskip(NEXT) | instid1(VALU_DEP_1)
	v_add_nc_u32_e32 v16, v10, v16
	v_lshrrev_b32_e32 v7, s51, v16
	v_mul_lo_u32 v16, v10, s46
	s_delay_alu instid0(VALU_DEP_2) | instskip(NEXT) | instid1(VALU_DEP_2)
	v_mul_lo_u32 v43, v7, s49
	v_sub_nc_u32_e32 v9, v9, v16
	s_delay_alu instid0(VALU_DEP_2) | instskip(NEXT) | instid1(VALU_DEP_2)
	v_sub_nc_u32_e32 v10, v10, v43
	v_mul_lo_u32 v9, v9, s54
	s_delay_alu instid0(VALU_DEP_2) | instskip(NEXT) | instid1(VALU_DEP_1)
	v_mul_lo_u32 v10, v10, s55
	v_add3_u32 v1, v9, v1, v10
	s_cbranch_scc0 .LBB7_54
; %bb.55:                               ;   in Loop: Header=BB7_9 Depth=1
	s_mov_b32 s20, s31
	s_and_not1_b32 vcc_lo, exec_lo, s34
	s_cbranch_vccz .LBB7_58
	s_branch .LBB7_60
.LBB7_56:                               ;   in Loop: Header=BB7_9 Depth=1
                                        ; implicit-def: $vgpr1
	s_branch .LBB7_61
.LBB7_57:                               ;   in Loop: Header=BB7_9 Depth=1
	v_mov_b32_e32 v7, v0
	s_and_not1_b32 vcc_lo, exec_lo, s34
	s_cbranch_vccnz .LBB7_60
.LBB7_58:                               ;   in Loop: Header=BB7_9 Depth=1
	s_lshl_b32 s21, s20, 2
	s_mul_i32 s22, s20, 12
	s_add_u32 s20, s0, s21
	s_addc_u32 s21, s1, 0
	s_add_u32 s22, s18, s22
	s_addc_u32 s23, s19, 0
	s_mov_b32 s36, s29
	.p2align	6
.LBB7_59:                               ;   Parent Loop BB7_9 Depth=1
                                        ; =>  This Inner Loop Header: Depth=2
	s_clause 0x1
	s_load_b64 s[38:39], s[22:23], 0x4
	s_load_b32 s37, s[22:23], 0xc
	s_add_u32 s22, s22, 12
	s_addc_u32 s23, s23, 0
	s_waitcnt lgkmcnt(0)
	v_mul_hi_u32 v8, s39, v7
	s_load_b32 s39, s[20:21], 0x0
	s_add_u32 s20, s20, 4
	s_addc_u32 s21, s21, 0
	s_add_i32 s36, s36, -1
	s_delay_alu instid0(SALU_CYCLE_1) | instskip(NEXT) | instid1(VALU_DEP_1)
	s_cmp_lg_u32 s36, 0
	v_add_nc_u32_e32 v8, v7, v8
	s_delay_alu instid0(VALU_DEP_1) | instskip(NEXT) | instid1(VALU_DEP_1)
	v_lshrrev_b32_e32 v10, s37, v8
	v_mul_lo_u32 v8, v10, s38
	s_delay_alu instid0(VALU_DEP_1) | instskip(SKIP_1) | instid1(VALU_DEP_1)
	v_sub_nc_u32_e32 v7, v7, v8
	s_waitcnt lgkmcnt(0)
	v_mad_u64_u32 v[8:9], null, v7, s39, v[1:2]
	v_mov_b32_e32 v7, v10
	s_delay_alu instid0(VALU_DEP_2)
	v_mov_b32_e32 v1, v8
	s_cbranch_scc1 .LBB7_59
.LBB7_60:                               ;   in Loop: Header=BB7_9 Depth=1
	s_cbranch_execnz .LBB7_63
.LBB7_61:                               ;   in Loop: Header=BB7_9 Depth=1
	v_mul_hi_u32 v1, v0, s6
	s_and_not1_b32 vcc_lo, exec_lo, s4
	s_delay_alu instid0(VALU_DEP_1) | instskip(NEXT) | instid1(VALU_DEP_1)
	v_add_nc_u32_e32 v1, v1, v0
	v_lshrrev_b32_e32 v7, s7, v1
	s_delay_alu instid0(VALU_DEP_1) | instskip(NEXT) | instid1(VALU_DEP_1)
	v_mul_lo_u32 v1, v7, s5
	v_sub_nc_u32_e32 v0, v0, v1
	s_waitcnt lgkmcnt(0)
	s_delay_alu instid0(VALU_DEP_1)
	v_mul_lo_u32 v1, v0, s14
	s_cbranch_vccnz .LBB7_63
; %bb.62:                               ;   in Loop: Header=BB7_9 Depth=1
	v_mul_hi_u32 v0, s9, v7
	s_delay_alu instid0(VALU_DEP_1) | instskip(NEXT) | instid1(VALU_DEP_1)
	v_add_nc_u32_e32 v0, v7, v0
	v_lshrrev_b32_e32 v0, s10, v0
	s_delay_alu instid0(VALU_DEP_1) | instskip(NEXT) | instid1(VALU_DEP_1)
	v_mul_lo_u32 v0, v0, s8
	v_sub_nc_u32_e32 v0, v7, v0
	s_delay_alu instid0(VALU_DEP_1) | instskip(NEXT) | instid1(VALU_DEP_1)
	v_mad_u64_u32 v[7:8], null, v0, s15, v[1:2]
	v_mov_b32_e32 v1, v7
.LBB7_63:                               ;   in Loop: Header=BB7_9 Depth=1
	v_cvt_f32_u32_e32 v0, v2
	s_delay_alu instid0(VALU_DEP_1) | instskip(NEXT) | instid1(VALU_DEP_1)
	v_fmaak_f32 v0, 0x2f800000, v0, 0x2f800000
	v_cmp_gt_f32_e32 vcc_lo, 0x800000, v0
	v_cndmask_b32_e64 v2, 1.0, 0x4f800000, vcc_lo
	s_delay_alu instid0(VALU_DEP_1) | instskip(NEXT) | instid1(VALU_DEP_1)
	v_mul_f32_e32 v0, v0, v2
	v_log_f32_e32 v0, v0
	s_waitcnt_depctr 0xfff
	v_mul_f32_e32 v2, 0x3f317217, v0
	s_delay_alu instid0(VALU_DEP_1) | instskip(NEXT) | instid1(VALU_DEP_1)
	v_fma_f32 v7, 0x3f317217, v0, -v2
	v_fmac_f32_e32 v7, 0x3377d1cf, v0
	s_delay_alu instid0(VALU_DEP_1) | instskip(SKIP_2) | instid1(VALU_DEP_3)
	v_add_f32_e32 v2, v2, v7
	v_cndmask_b32_e64 v7, 0, 0x41b17218, vcc_lo
	v_cmp_gt_f32_e64 vcc_lo, 0x7f800000, |v0|
	v_cndmask_b32_e32 v0, v0, v2, vcc_lo
	s_delay_alu instid0(VALU_DEP_1) | instskip(NEXT) | instid1(VALU_DEP_1)
	v_sub_f32_e32 v0, v0, v7
	v_div_scale_f32 v2, null, v39, v39, v0
	s_delay_alu instid0(VALU_DEP_1) | instskip(SKIP_2) | instid1(VALU_DEP_1)
	v_rcp_f32_e32 v7, v2
	s_waitcnt_depctr 0xfff
	v_fma_f32 v8, -v2, v7, 1.0
	v_fmac_f32_e32 v7, v8, v7
	v_div_scale_f32 v8, vcc_lo, v0, v39, v0
	s_delay_alu instid0(VALU_DEP_1) | instskip(NEXT) | instid1(VALU_DEP_1)
	v_mul_f32_e32 v9, v8, v7
	v_fma_f32 v10, -v2, v9, v8
	s_delay_alu instid0(VALU_DEP_1) | instskip(NEXT) | instid1(VALU_DEP_1)
	v_fmac_f32_e32 v9, v10, v7
	v_fma_f32 v2, -v2, v9, v8
	s_delay_alu instid0(VALU_DEP_1) | instskip(NEXT) | instid1(VALU_DEP_1)
	v_div_fmas_f32 v2, v2, v7, v9
	v_div_fixup_f32 v0, v2, v39, v0
	s_delay_alu instid0(VALU_DEP_1) | instskip(NEXT) | instid1(VALU_DEP_1)
	v_ceil_f32_e32 v0, v0
	v_cvt_i32_f32_e32 v0, v0
	global_store_b8 v1, v0, s[12:13]
.LBB7_64:                               ;   in Loop: Header=BB7_9 Depth=1
	s_or_b32 exec_lo, exec_lo, s35
	v_add_co_u32 v0, vcc_lo, v13, s33
	v_add_co_ci_u32_e32 v1, vcc_lo, 0, v14, vcc_lo
	s_mov_b32 s35, exec_lo
	s_delay_alu instid0(VALU_DEP_1)
	v_cmpx_gt_i64_e64 s[16:17], v[0:1]
	s_cbranch_execz .LBB7_8
; %bb.65:                               ;   in Loop: Header=BB7_9 Depth=1
	s_and_not1_b32 vcc_lo, exec_lo, s11
	s_cbranch_vccnz .LBB7_71
; %bb.66:                               ;   in Loop: Header=BB7_9 Depth=1
	v_mov_b32_e32 v1, 0
	s_and_not1_b32 vcc_lo, exec_lo, s27
	s_cbranch_vccnz .LBB7_75
; %bb.67:                               ;   in Loop: Header=BB7_9 Depth=1
	s_and_not1_b32 vcc_lo, exec_lo, s30
	s_mov_b32 s20, 0
	s_cbranch_vccnz .LBB7_72
; %bb.68:                               ;   in Loop: Header=BB7_9 Depth=1
	v_dual_mov_b32 v1, 0 :: v_dual_mov_b32 v2, v0
	s_mov_b32 s36, 0
	s_mov_b64 s[20:21], s[18:19]
	s_mov_b64 s[22:23], s[0:1]
.LBB7_69:                               ;   Parent Loop BB7_9 Depth=1
                                        ; =>  This Inner Loop Header: Depth=2
	s_clause 0x1
	s_load_b256 s[40:47], s[20:21], 0x4
	s_load_b128 s[48:51], s[20:21], 0x24
	s_load_b128 s[52:55], s[22:23], 0x0
	s_add_u32 s20, s20, 48
	s_addc_u32 s21, s21, 0
	s_add_i32 s36, s36, 4
	s_add_u32 s22, s22, 16
	s_addc_u32 s23, s23, 0
	s_cmp_eq_u32 s31, s36
	s_waitcnt lgkmcnt(0)
	v_mul_hi_u32 v7, s41, v2
	s_delay_alu instid0(VALU_DEP_1) | instskip(NEXT) | instid1(VALU_DEP_1)
	v_add_nc_u32_e32 v7, v2, v7
	v_lshrrev_b32_e32 v7, s42, v7
	s_delay_alu instid0(VALU_DEP_1) | instskip(SKIP_1) | instid1(VALU_DEP_2)
	v_mul_hi_u32 v8, s44, v7
	v_mul_lo_u32 v16, v7, s40
	v_add_nc_u32_e32 v8, v7, v8
	s_delay_alu instid0(VALU_DEP_2) | instskip(NEXT) | instid1(VALU_DEP_2)
	v_sub_nc_u32_e32 v16, v2, v16
	v_lshrrev_b32_e32 v8, s45, v8
	s_delay_alu instid0(VALU_DEP_2) | instskip(NEXT) | instid1(VALU_DEP_2)
	v_mul_lo_u32 v16, v16, s52
	v_mul_hi_u32 v9, s47, v8
	v_mul_lo_u32 v41, v8, s43
	s_delay_alu instid0(VALU_DEP_2) | instskip(NEXT) | instid1(VALU_DEP_2)
	v_add_nc_u32_e32 v9, v8, v9
	v_sub_nc_u32_e32 v7, v7, v41
	s_delay_alu instid0(VALU_DEP_2) | instskip(NEXT) | instid1(VALU_DEP_2)
	v_lshrrev_b32_e32 v9, s48, v9
	v_mul_lo_u32 v7, v7, s53
	s_delay_alu instid0(VALU_DEP_2) | instskip(NEXT) | instid1(VALU_DEP_2)
	v_mul_hi_u32 v10, s50, v9
	v_add3_u32 v1, v16, v1, v7
	s_delay_alu instid0(VALU_DEP_2) | instskip(NEXT) | instid1(VALU_DEP_1)
	v_add_nc_u32_e32 v10, v9, v10
	v_lshrrev_b32_e32 v2, s51, v10
	v_mul_lo_u32 v10, v9, s46
	s_delay_alu instid0(VALU_DEP_2) | instskip(NEXT) | instid1(VALU_DEP_2)
	v_mul_lo_u32 v42, v2, s49
	v_sub_nc_u32_e32 v8, v8, v10
	s_delay_alu instid0(VALU_DEP_2) | instskip(NEXT) | instid1(VALU_DEP_2)
	v_sub_nc_u32_e32 v9, v9, v42
	v_mul_lo_u32 v8, v8, s54
	s_delay_alu instid0(VALU_DEP_2) | instskip(NEXT) | instid1(VALU_DEP_1)
	v_mul_lo_u32 v9, v9, s55
	v_add3_u32 v1, v8, v1, v9
	s_cbranch_scc0 .LBB7_69
; %bb.70:                               ;   in Loop: Header=BB7_9 Depth=1
	s_mov_b32 s20, s31
	s_and_not1_b32 vcc_lo, exec_lo, s34
	s_cbranch_vccz .LBB7_73
	s_branch .LBB7_75
.LBB7_71:                               ;   in Loop: Header=BB7_9 Depth=1
                                        ; implicit-def: $vgpr1
	s_branch .LBB7_76
.LBB7_72:                               ;   in Loop: Header=BB7_9 Depth=1
	v_mov_b32_e32 v2, v0
	s_and_not1_b32 vcc_lo, exec_lo, s34
	s_cbranch_vccnz .LBB7_75
.LBB7_73:                               ;   in Loop: Header=BB7_9 Depth=1
	s_lshl_b32 s21, s20, 2
	s_mul_i32 s22, s20, 12
	s_add_u32 s20, s0, s21
	s_addc_u32 s21, s1, 0
	s_add_u32 s22, s18, s22
	s_addc_u32 s23, s19, 0
	s_mov_b32 s36, s29
	.p2align	6
.LBB7_74:                               ;   Parent Loop BB7_9 Depth=1
                                        ; =>  This Inner Loop Header: Depth=2
	s_clause 0x1
	s_load_b64 s[38:39], s[22:23], 0x4
	s_load_b32 s37, s[22:23], 0xc
	s_add_u32 s22, s22, 12
	s_addc_u32 s23, s23, 0
	s_waitcnt lgkmcnt(0)
	v_mul_hi_u32 v7, s39, v2
	s_load_b32 s39, s[20:21], 0x0
	s_add_u32 s20, s20, 4
	s_addc_u32 s21, s21, 0
	s_add_i32 s36, s36, -1
	s_delay_alu instid0(SALU_CYCLE_1) | instskip(NEXT) | instid1(VALU_DEP_1)
	s_cmp_lg_u32 s36, 0
	v_add_nc_u32_e32 v7, v2, v7
	s_delay_alu instid0(VALU_DEP_1) | instskip(NEXT) | instid1(VALU_DEP_1)
	v_lshrrev_b32_e32 v9, s37, v7
	v_mul_lo_u32 v7, v9, s38
	s_delay_alu instid0(VALU_DEP_1) | instskip(SKIP_1) | instid1(VALU_DEP_1)
	v_sub_nc_u32_e32 v2, v2, v7
	s_waitcnt lgkmcnt(0)
	v_mad_u64_u32 v[7:8], null, v2, s39, v[1:2]
	s_delay_alu instid0(VALU_DEP_1)
	v_dual_mov_b32 v2, v9 :: v_dual_mov_b32 v1, v7
	s_cbranch_scc1 .LBB7_74
.LBB7_75:                               ;   in Loop: Header=BB7_9 Depth=1
	s_cbranch_execnz .LBB7_7
.LBB7_76:                               ;   in Loop: Header=BB7_9 Depth=1
	v_mul_hi_u32 v1, v0, s6
	s_and_not1_b32 vcc_lo, exec_lo, s4
	s_delay_alu instid0(VALU_DEP_1) | instskip(NEXT) | instid1(VALU_DEP_1)
	v_add_nc_u32_e32 v1, v1, v0
	v_lshrrev_b32_e32 v2, s7, v1
	s_delay_alu instid0(VALU_DEP_1) | instskip(NEXT) | instid1(VALU_DEP_1)
	v_mul_lo_u32 v1, v2, s5
	v_sub_nc_u32_e32 v0, v0, v1
	s_waitcnt lgkmcnt(0)
	s_delay_alu instid0(VALU_DEP_1)
	v_mul_lo_u32 v1, v0, s14
	s_cbranch_vccnz .LBB7_7
; %bb.77:                               ;   in Loop: Header=BB7_9 Depth=1
	v_mul_hi_u32 v0, s9, v2
	s_delay_alu instid0(VALU_DEP_1) | instskip(NEXT) | instid1(VALU_DEP_1)
	v_add_nc_u32_e32 v0, v2, v0
	v_lshrrev_b32_e32 v0, s10, v0
	s_delay_alu instid0(VALU_DEP_1) | instskip(NEXT) | instid1(VALU_DEP_1)
	v_mul_lo_u32 v0, v0, s8
	v_sub_nc_u32_e32 v0, v2, v0
	s_delay_alu instid0(VALU_DEP_1) | instskip(NEXT) | instid1(VALU_DEP_1)
	v_mad_u64_u32 v[7:8], null, v0, s15, v[1:2]
	v_mov_b32_e32 v1, v7
	s_branch .LBB7_7
.LBB7_78:
	s_endpgm
.LBB7_79:
                                        ; implicit-def: $sgpr2_sgpr3
	s_branch .LBB7_4
	.section	.rodata,"a",@progbits
	.p2align	6, 0x0
	.amdhsa_kernel _ZN2at6native12_GLOBAL__N_143distribution_elementwise_grid_stride_kernelIfLi4EZNS0_9templates4cuda21uniform_and_transformIafPNS_17CUDAGeneratorImplEZZZNS4_16geometric_kernelIS7_EEvRNS_18TensorIteratorBaseEdT_ENKUlvE_clEvENKUlvE0_clEvEUlfE_EEvSA_T1_T2_EUlP25hiprandStatePhilox4_32_10E0_ZNS1_27distribution_nullary_kernelIaf15HIP_vector_typeIfLj4EES7_SJ_SE_EEvSA_SG_RKT3_T4_EUlifE0_EEvlNS_15PhiloxCudaStateESF_SG_
		.amdhsa_group_segment_fixed_size 0
		.amdhsa_private_segment_fixed_size 0
		.amdhsa_kernarg_size 584
		.amdhsa_user_sgpr_count 15
		.amdhsa_user_sgpr_dispatch_ptr 0
		.amdhsa_user_sgpr_queue_ptr 0
		.amdhsa_user_sgpr_kernarg_segment_ptr 1
		.amdhsa_user_sgpr_dispatch_id 0
		.amdhsa_user_sgpr_private_segment_size 0
		.amdhsa_wavefront_size32 1
		.amdhsa_uses_dynamic_stack 0
		.amdhsa_enable_private_segment 0
		.amdhsa_system_sgpr_workgroup_id_x 1
		.amdhsa_system_sgpr_workgroup_id_y 0
		.amdhsa_system_sgpr_workgroup_id_z 0
		.amdhsa_system_sgpr_workgroup_info 0
		.amdhsa_system_vgpr_workitem_id 0
		.amdhsa_next_free_vgpr 45
		.amdhsa_next_free_sgpr 56
		.amdhsa_reserve_vcc 1
		.amdhsa_float_round_mode_32 0
		.amdhsa_float_round_mode_16_64 0
		.amdhsa_float_denorm_mode_32 3
		.amdhsa_float_denorm_mode_16_64 3
		.amdhsa_dx10_clamp 1
		.amdhsa_ieee_mode 1
		.amdhsa_fp16_overflow 0
		.amdhsa_workgroup_processor_mode 1
		.amdhsa_memory_ordered 1
		.amdhsa_forward_progress 0
		.amdhsa_shared_vgpr_count 0
		.amdhsa_exception_fp_ieee_invalid_op 0
		.amdhsa_exception_fp_denorm_src 0
		.amdhsa_exception_fp_ieee_div_zero 0
		.amdhsa_exception_fp_ieee_overflow 0
		.amdhsa_exception_fp_ieee_underflow 0
		.amdhsa_exception_fp_ieee_inexact 0
		.amdhsa_exception_int_div_zero 0
	.end_amdhsa_kernel
	.section	.text._ZN2at6native12_GLOBAL__N_143distribution_elementwise_grid_stride_kernelIfLi4EZNS0_9templates4cuda21uniform_and_transformIafPNS_17CUDAGeneratorImplEZZZNS4_16geometric_kernelIS7_EEvRNS_18TensorIteratorBaseEdT_ENKUlvE_clEvENKUlvE0_clEvEUlfE_EEvSA_T1_T2_EUlP25hiprandStatePhilox4_32_10E0_ZNS1_27distribution_nullary_kernelIaf15HIP_vector_typeIfLj4EES7_SJ_SE_EEvSA_SG_RKT3_T4_EUlifE0_EEvlNS_15PhiloxCudaStateESF_SG_,"axG",@progbits,_ZN2at6native12_GLOBAL__N_143distribution_elementwise_grid_stride_kernelIfLi4EZNS0_9templates4cuda21uniform_and_transformIafPNS_17CUDAGeneratorImplEZZZNS4_16geometric_kernelIS7_EEvRNS_18TensorIteratorBaseEdT_ENKUlvE_clEvENKUlvE0_clEvEUlfE_EEvSA_T1_T2_EUlP25hiprandStatePhilox4_32_10E0_ZNS1_27distribution_nullary_kernelIaf15HIP_vector_typeIfLj4EES7_SJ_SE_EEvSA_SG_RKT3_T4_EUlifE0_EEvlNS_15PhiloxCudaStateESF_SG_,comdat
.Lfunc_end7:
	.size	_ZN2at6native12_GLOBAL__N_143distribution_elementwise_grid_stride_kernelIfLi4EZNS0_9templates4cuda21uniform_and_transformIafPNS_17CUDAGeneratorImplEZZZNS4_16geometric_kernelIS7_EEvRNS_18TensorIteratorBaseEdT_ENKUlvE_clEvENKUlvE0_clEvEUlfE_EEvSA_T1_T2_EUlP25hiprandStatePhilox4_32_10E0_ZNS1_27distribution_nullary_kernelIaf15HIP_vector_typeIfLj4EES7_SJ_SE_EEvSA_SG_RKT3_T4_EUlifE0_EEvlNS_15PhiloxCudaStateESF_SG_, .Lfunc_end7-_ZN2at6native12_GLOBAL__N_143distribution_elementwise_grid_stride_kernelIfLi4EZNS0_9templates4cuda21uniform_and_transformIafPNS_17CUDAGeneratorImplEZZZNS4_16geometric_kernelIS7_EEvRNS_18TensorIteratorBaseEdT_ENKUlvE_clEvENKUlvE0_clEvEUlfE_EEvSA_T1_T2_EUlP25hiprandStatePhilox4_32_10E0_ZNS1_27distribution_nullary_kernelIaf15HIP_vector_typeIfLj4EES7_SJ_SE_EEvSA_SG_RKT3_T4_EUlifE0_EEvlNS_15PhiloxCudaStateESF_SG_
                                        ; -- End function
	.section	.AMDGPU.csdata,"",@progbits
; Kernel info:
; codeLenInByte = 6756
; NumSgprs: 58
; NumVgprs: 45
; ScratchSize: 0
; MemoryBound: 0
; FloatMode: 240
; IeeeMode: 1
; LDSByteSize: 0 bytes/workgroup (compile time only)
; SGPRBlocks: 7
; VGPRBlocks: 5
; NumSGPRsForWavesPerEU: 58
; NumVGPRsForWavesPerEU: 45
; Occupancy: 16
; WaveLimiterHint : 1
; COMPUTE_PGM_RSRC2:SCRATCH_EN: 0
; COMPUTE_PGM_RSRC2:USER_SGPR: 15
; COMPUTE_PGM_RSRC2:TRAP_HANDLER: 0
; COMPUTE_PGM_RSRC2:TGID_X_EN: 1
; COMPUTE_PGM_RSRC2:TGID_Y_EN: 0
; COMPUTE_PGM_RSRC2:TGID_Z_EN: 0
; COMPUTE_PGM_RSRC2:TIDIG_COMP_CNT: 0
	.section	.text._ZN2at6native12_GLOBAL__N_143distribution_elementwise_grid_stride_kernelIfLi4EZNS0_9templates4cuda21uniform_and_transformIifPNS_17CUDAGeneratorImplEZZZNS4_16geometric_kernelIS7_EEvRNS_18TensorIteratorBaseEdT_ENKUlvE_clEvENKUlvE1_clEvEUlfE_EEvSA_T1_T2_EUlP25hiprandStatePhilox4_32_10E_ZNS1_27distribution_nullary_kernelIif15HIP_vector_typeIdLj2EES7_SJ_SE_EEvSA_SG_RKT3_T4_EUlifE_EEvlNS_15PhiloxCudaStateESF_SG_,"axG",@progbits,_ZN2at6native12_GLOBAL__N_143distribution_elementwise_grid_stride_kernelIfLi4EZNS0_9templates4cuda21uniform_and_transformIifPNS_17CUDAGeneratorImplEZZZNS4_16geometric_kernelIS7_EEvRNS_18TensorIteratorBaseEdT_ENKUlvE_clEvENKUlvE1_clEvEUlfE_EEvSA_T1_T2_EUlP25hiprandStatePhilox4_32_10E_ZNS1_27distribution_nullary_kernelIif15HIP_vector_typeIdLj2EES7_SJ_SE_EEvSA_SG_RKT3_T4_EUlifE_EEvlNS_15PhiloxCudaStateESF_SG_,comdat
	.globl	_ZN2at6native12_GLOBAL__N_143distribution_elementwise_grid_stride_kernelIfLi4EZNS0_9templates4cuda21uniform_and_transformIifPNS_17CUDAGeneratorImplEZZZNS4_16geometric_kernelIS7_EEvRNS_18TensorIteratorBaseEdT_ENKUlvE_clEvENKUlvE1_clEvEUlfE_EEvSA_T1_T2_EUlP25hiprandStatePhilox4_32_10E_ZNS1_27distribution_nullary_kernelIif15HIP_vector_typeIdLj2EES7_SJ_SE_EEvSA_SG_RKT3_T4_EUlifE_EEvlNS_15PhiloxCudaStateESF_SG_ ; -- Begin function _ZN2at6native12_GLOBAL__N_143distribution_elementwise_grid_stride_kernelIfLi4EZNS0_9templates4cuda21uniform_and_transformIifPNS_17CUDAGeneratorImplEZZZNS4_16geometric_kernelIS7_EEvRNS_18TensorIteratorBaseEdT_ENKUlvE_clEvENKUlvE1_clEvEUlfE_EEvSA_T1_T2_EUlP25hiprandStatePhilox4_32_10E_ZNS1_27distribution_nullary_kernelIif15HIP_vector_typeIdLj2EES7_SJ_SE_EEvSA_SG_RKT3_T4_EUlifE_EEvlNS_15PhiloxCudaStateESF_SG_
	.p2align	8
	.type	_ZN2at6native12_GLOBAL__N_143distribution_elementwise_grid_stride_kernelIfLi4EZNS0_9templates4cuda21uniform_and_transformIifPNS_17CUDAGeneratorImplEZZZNS4_16geometric_kernelIS7_EEvRNS_18TensorIteratorBaseEdT_ENKUlvE_clEvENKUlvE1_clEvEUlfE_EEvSA_T1_T2_EUlP25hiprandStatePhilox4_32_10E_ZNS1_27distribution_nullary_kernelIif15HIP_vector_typeIdLj2EES7_SJ_SE_EEvSA_SG_RKT3_T4_EUlifE_EEvlNS_15PhiloxCudaStateESF_SG_,@function
_ZN2at6native12_GLOBAL__N_143distribution_elementwise_grid_stride_kernelIfLi4EZNS0_9templates4cuda21uniform_and_transformIifPNS_17CUDAGeneratorImplEZZZNS4_16geometric_kernelIS7_EEvRNS_18TensorIteratorBaseEdT_ENKUlvE_clEvENKUlvE1_clEvEUlfE_EEvSA_T1_T2_EUlP25hiprandStatePhilox4_32_10E_ZNS1_27distribution_nullary_kernelIif15HIP_vector_typeIdLj2EES7_SJ_SE_EEvSA_SG_RKT3_T4_EUlifE_EEvlNS_15PhiloxCudaStateESF_SG_: ; @_ZN2at6native12_GLOBAL__N_143distribution_elementwise_grid_stride_kernelIfLi4EZNS0_9templates4cuda21uniform_and_transformIifPNS_17CUDAGeneratorImplEZZZNS4_16geometric_kernelIS7_EEvRNS_18TensorIteratorBaseEdT_ENKUlvE_clEvENKUlvE1_clEvEUlfE_EEvSA_T1_T2_EUlP25hiprandStatePhilox4_32_10E_ZNS1_27distribution_nullary_kernelIif15HIP_vector_typeIdLj2EES7_SJ_SE_EEvSA_SG_RKT3_T4_EUlifE_EEvlNS_15PhiloxCudaStateESF_SG_
; %bb.0:
	s_clause 0x2
	s_load_b64 s[8:9], s[0:1], 0x10
	s_load_b128 s[4:7], s[0:1], 0x0
	s_load_b32 s2, s[0:1], 0x20
	s_waitcnt lgkmcnt(0)
	v_dual_mov_b32 v2, s8 :: v_dual_mov_b32 v3, s9
	v_dual_mov_b32 v9, s7 :: v_dual_mov_b32 v8, s6
	s_bitcmp0_b32 s2, 0
	s_mov_b32 s2, 0
	s_cbranch_scc1 .LBB8_2
; %bb.1:
	v_dual_mov_b32 v1, s8 :: v_dual_mov_b32 v2, s9
	v_dual_mov_b32 v4, s6 :: v_dual_mov_b32 v5, s7
	s_load_b64 s[6:7], s[0:1], 0x18
	flat_load_b64 v[2:3], v[1:2]
	flat_load_b64 v[8:9], v[4:5]
	s_waitcnt vmcnt(1) lgkmcnt(0)
	v_add_co_u32 v2, vcc_lo, v2, s6
	v_add_co_ci_u32_e32 v3, vcc_lo, s7, v3, vcc_lo
.LBB8_2:
	s_clause 0x1
	s_load_b32 s3, s[0:1], 0x54
	s_load_b32 s11, s[0:1], 0x48
	s_waitcnt lgkmcnt(0)
	s_and_b32 s10, s3, 0xffff
	s_add_u32 s6, s4, -1
	s_mul_i32 s8, s11, s10
	s_addc_u32 s3, s5, -1
	s_lshl_b32 s9, s8, 2
	s_cmp_lg_u64 s[2:3], 0
	s_cbranch_scc0 .LBB8_27
; %bb.3:
	v_cvt_f32_ubyte0_e32 v1, 0
	v_cvt_f32_u32_e32 v4, s9
	s_sub_u32 s12, 0, s9
	s_subb_u32 s13, 0, 0
	s_delay_alu instid0(VALU_DEP_1) | instskip(NEXT) | instid1(VALU_DEP_1)
	v_fmamk_f32 v1, v1, 0x4f800000, v4
	v_rcp_f32_e32 v1, v1
	s_waitcnt_depctr 0xfff
	v_mul_f32_e32 v1, 0x5f7ffffc, v1
	s_delay_alu instid0(VALU_DEP_1) | instskip(NEXT) | instid1(VALU_DEP_1)
	v_mul_f32_e32 v4, 0x2f800000, v1
	v_trunc_f32_e32 v4, v4
	s_delay_alu instid0(VALU_DEP_1) | instskip(SKIP_1) | instid1(VALU_DEP_2)
	v_fmamk_f32 v1, v4, 0xcf800000, v1
	v_cvt_u32_f32_e32 v4, v4
	v_cvt_u32_f32_e32 v1, v1
	s_delay_alu instid0(VALU_DEP_2) | instskip(NEXT) | instid1(VALU_DEP_2)
	v_readfirstlane_b32 s2, v4
	v_readfirstlane_b32 s7, v1
	s_delay_alu instid0(VALU_DEP_2) | instskip(NEXT) | instid1(VALU_DEP_1)
	s_mul_i32 s14, s12, s2
	s_mul_hi_u32 s17, s12, s7
	s_mul_i32 s16, s13, s7
	s_add_i32 s14, s17, s14
	s_mul_i32 s18, s12, s7
	s_add_i32 s14, s14, s16
	s_mul_hi_u32 s17, s7, s18
	s_mul_hi_u32 s19, s2, s18
	s_mul_i32 s16, s2, s18
	s_mul_hi_u32 s18, s7, s14
	s_mul_i32 s7, s7, s14
	s_mul_hi_u32 s20, s2, s14
	s_add_u32 s7, s17, s7
	s_addc_u32 s17, 0, s18
	s_add_u32 s7, s7, s16
	s_mul_i32 s14, s2, s14
	s_addc_u32 s7, s17, s19
	s_addc_u32 s16, s20, 0
	s_add_u32 s7, s7, s14
	s_addc_u32 s14, 0, s16
	v_add_co_u32 v1, s7, v1, s7
	s_delay_alu instid0(VALU_DEP_1) | instskip(SKIP_1) | instid1(VALU_DEP_1)
	s_cmp_lg_u32 s7, 0
	s_addc_u32 s2, s2, s14
	v_readfirstlane_b32 s7, v1
	s_mul_i32 s14, s12, s2
	s_delay_alu instid0(VALU_DEP_1)
	s_mul_hi_u32 s16, s12, s7
	s_mul_i32 s13, s13, s7
	s_add_i32 s14, s16, s14
	s_mul_i32 s12, s12, s7
	s_add_i32 s14, s14, s13
	s_mul_hi_u32 s16, s2, s12
	s_mul_i32 s17, s2, s12
	s_mul_hi_u32 s12, s7, s12
	s_mul_hi_u32 s18, s7, s14
	s_mul_i32 s7, s7, s14
	s_mul_hi_u32 s13, s2, s14
	s_add_u32 s7, s12, s7
	s_addc_u32 s12, 0, s18
	s_add_u32 s7, s7, s17
	s_mul_i32 s14, s2, s14
	s_addc_u32 s7, s12, s16
	s_addc_u32 s12, s13, 0
	s_add_u32 s7, s7, s14
	s_addc_u32 s12, 0, s12
	v_add_co_u32 v1, s7, v1, s7
	s_delay_alu instid0(VALU_DEP_1) | instskip(SKIP_2) | instid1(VALU_DEP_1)
	s_cmp_lg_u32 s7, 0
	s_addc_u32 s7, s2, s12
	s_ashr_i32 s12, s3, 31
	v_readfirstlane_b32 s14, v1
	s_add_u32 s2, s6, s12
	s_mov_b32 s13, s12
	s_addc_u32 s3, s3, s12
	s_delay_alu instid0(SALU_CYCLE_1) | instskip(NEXT) | instid1(SALU_CYCLE_1)
	s_xor_b64 s[2:3], s[2:3], s[12:13]
	s_mul_i32 s17, s2, s7
	s_mul_hi_u32 s18, s2, s14
	s_mul_hi_u32 s16, s2, s7
	;; [unrolled: 1-line block ×3, first 2 shown]
	s_mul_i32 s14, s3, s14
	s_add_u32 s17, s18, s17
	s_addc_u32 s16, 0, s16
	s_mul_hi_u32 s19, s3, s7
	s_add_u32 s14, s17, s14
	s_mul_i32 s7, s3, s7
	s_addc_u32 s14, s16, s20
	s_addc_u32 s16, s19, 0
	s_add_u32 s7, s14, s7
	s_addc_u32 s14, 0, s16
	s_mul_i32 s17, s9, s7
	s_add_u32 s16, s7, 1
	v_sub_co_u32 v1, s2, s2, s17
	s_mul_hi_u32 s17, s9, s7
	s_addc_u32 s18, s14, 0
	s_mul_i32 s19, s9, s14
	s_delay_alu instid0(VALU_DEP_1)
	v_sub_co_u32 v4, s20, v1, s9
	s_add_u32 s21, s7, 2
	s_addc_u32 s22, s14, 0
	s_add_i32 s17, s17, s19
	s_cmp_lg_u32 s2, 0
	v_readfirstlane_b32 s2, v4
	s_subb_u32 s3, s3, s17
	s_cmp_lg_u32 s20, 0
	s_subb_u32 s17, s3, 0
	s_delay_alu instid0(VALU_DEP_1) | instskip(SKIP_4) | instid1(SALU_CYCLE_1)
	s_cmp_ge_u32 s2, s9
	s_cselect_b32 s2, -1, 0
	s_cmp_eq_u32 s17, 0
	v_readfirstlane_b32 s17, v1
	s_cselect_b32 s2, s2, -1
	s_cmp_lg_u32 s2, 0
	s_cselect_b32 s2, s21, s16
	s_cselect_b32 s16, s22, s18
	s_cmp_ge_u32 s17, s9
	s_cselect_b32 s17, -1, 0
	s_cmp_eq_u32 s3, 0
	s_cselect_b32 s3, s17, -1
	s_delay_alu instid0(SALU_CYCLE_1) | instskip(SKIP_2) | instid1(SALU_CYCLE_1)
	s_cmp_lg_u32 s3, 0
	s_cselect_b32 s3, s16, s14
	s_cselect_b32 s2, s2, s7
	s_xor_b64 s[2:3], s[2:3], s[12:13]
	s_delay_alu instid0(SALU_CYCLE_1)
	s_sub_u32 s2, s2, s12
	s_subb_u32 s3, s3, s12
	s_cbranch_execnz .LBB8_5
.LBB8_4:
	v_cvt_f32_u32_e32 v1, s9
	s_sub_i32 s3, 0, s9
	s_delay_alu instid0(VALU_DEP_1) | instskip(SKIP_2) | instid1(VALU_DEP_1)
	v_rcp_iflag_f32_e32 v1, v1
	s_waitcnt_depctr 0xfff
	v_mul_f32_e32 v1, 0x4f7ffffe, v1
	v_cvt_u32_f32_e32 v1, v1
	s_delay_alu instid0(VALU_DEP_1) | instskip(NEXT) | instid1(VALU_DEP_1)
	v_readfirstlane_b32 s2, v1
	s_mul_i32 s3, s3, s2
	s_delay_alu instid0(SALU_CYCLE_1) | instskip(NEXT) | instid1(SALU_CYCLE_1)
	s_mul_hi_u32 s3, s2, s3
	s_add_i32 s2, s2, s3
	s_delay_alu instid0(SALU_CYCLE_1) | instskip(NEXT) | instid1(SALU_CYCLE_1)
	s_mul_hi_u32 s2, s6, s2
	s_mul_i32 s3, s2, s9
	s_delay_alu instid0(SALU_CYCLE_1)
	s_sub_i32 s3, s6, s3
	s_add_i32 s6, s2, 1
	s_sub_i32 s7, s3, s9
	s_cmp_ge_u32 s3, s9
	s_cselect_b32 s2, s6, s2
	s_cselect_b32 s3, s7, s3
	s_add_i32 s6, s2, 1
	s_cmp_ge_u32 s3, s9
	s_mov_b32 s3, 0
	s_cselect_b32 s2, s6, s2
.LBB8_5:
	v_mov_b32_e32 v1, 0
	s_add_u32 s2, s2, 1
	s_addc_u32 s3, s3, 0
	s_mul_hi_u32 s6, s8, s2
	s_mul_i32 s3, s8, s3
	v_mad_u64_u32 v[10:11], null, s10, s15, v[0:1]
	s_mul_hi_u32 s7, s11, s10
	s_add_i32 s3, s6, s3
	s_mul_i32 s7, s7, s2
	s_mul_i32 s2, s8, s2
	s_add_i32 s3, s3, s7
	s_mov_b32 s6, exec_lo
	s_lshl_b64 s[2:3], s[2:3], 2
	s_delay_alu instid0(SALU_CYCLE_1)
	v_cmpx_gt_i64_e64 s[2:3], v[10:11]
	s_cbranch_execz .LBB8_26
; %bb.6:
	s_load_b64 s[6:7], s[0:1], 0x40
	v_alignbit_b32 v21, v3, v2, 2
	v_lshrrev_b32_e32 v22, 2, v3
	s_waitcnt vmcnt(0)
	v_add_co_u32 v20, null, 0x9e3779b9, v8
	v_add_co_u32 v23, null, 0x3c6ef372, v8
	;; [unrolled: 1-line block ×5, first 2 shown]
	s_add_i32 s16, s15, s11
	s_mul_i32 s13, s11, 3
	v_add_co_u32 v26, null, 0xf1bbcdc8, v8
	s_add_i32 s13, s15, s13
	v_mov_b32_e32 v40, v9
	s_waitcnt lgkmcnt(0)
	v_cvt_f32_f64_e32 v32, s[6:7]
	s_clause 0x1
	s_load_b64 s[6:7], s[0:1], 0x30
	s_load_b32 s12, s[0:1], 0x38
	s_mov_b32 s1, 0x3e9b6dac
	s_mov_b32 s0, 0
	v_add_co_u32 v27, null, 0xbb67ae85, v40
	v_log_f32_e32 v33, s0
	s_delay_alu instid0(VALU_DEP_2) | instskip(SKIP_1) | instid1(VALU_DEP_2)
	v_sub_f32_e32 v1, 1.0, v32
	v_cmp_gt_f32_e64 s14, 0x33800000, |v32|
	v_cvt_f64_f32_e32 v[4:5], v1
	s_delay_alu instid0(VALU_DEP_1) | instskip(SKIP_1) | instid1(VALU_DEP_1)
	v_frexp_exp_i32_f64_e32 v4, v[4:5]
	v_frexp_mant_f32_e32 v5, v1
	v_cmp_gt_f32_e32 vcc_lo, 0x3f2aaaab, v5
	v_add_f32_e32 v5, -1.0, v1
	s_delay_alu instid0(VALU_DEP_1) | instskip(SKIP_3) | instid1(VALU_DEP_2)
	v_sub_f32_e32 v7, v5, v1
	v_sub_f32_e64 v5, -v32, v5
	v_subrev_co_ci_u32_e32 v4, vcc_lo, 0, v4, vcc_lo
	v_cmp_eq_f32_e32 vcc_lo, 0xff800000, v32
	v_sub_nc_u32_e32 v6, 0, v4
	v_cvt_f32_i32_e32 v4, v4
	s_delay_alu instid0(VALU_DEP_2) | instskip(NEXT) | instid1(VALU_DEP_1)
	v_ldexp_f32 v1, v1, v6
	v_dual_add_f32 v7, 1.0, v7 :: v_dual_add_f32 v12, 1.0, v1
	s_delay_alu instid0(VALU_DEP_1) | instskip(NEXT) | instid1(VALU_DEP_1)
	v_add_f32_e32 v5, v5, v7
	v_ldexp_f32 v5, v5, v6
	s_delay_alu instid0(VALU_DEP_3) | instskip(NEXT) | instid1(VALU_DEP_1)
	v_dual_add_f32 v6, -1.0, v1 :: v_dual_add_f32 v7, -1.0, v12
	v_add_f32_e32 v13, 1.0, v6
	s_delay_alu instid0(VALU_DEP_2) | instskip(NEXT) | instid1(VALU_DEP_2)
	v_sub_f32_e32 v7, v1, v7
	v_sub_f32_e32 v1, v1, v13
	s_delay_alu instid0(VALU_DEP_1) | instskip(NEXT) | instid1(VALU_DEP_1)
	v_add_f32_e32 v1, v5, v1
	v_dual_add_f32 v14, v6, v1 :: v_dual_add_f32 v7, v5, v7
	s_delay_alu instid0(VALU_DEP_1) | instskip(NEXT) | instid1(VALU_DEP_1)
	v_dual_sub_f32 v6, v14, v6 :: v_dual_add_f32 v13, v12, v7
	v_sub_f32_e32 v1, v1, v6
	s_delay_alu instid0(VALU_DEP_2) | instskip(SKIP_1) | instid1(VALU_DEP_1)
	v_rcp_f32_e32 v5, v13
	v_sub_f32_e32 v12, v13, v12
	v_sub_f32_e32 v7, v7, v12
	s_waitcnt_depctr 0xfff
	v_mul_f32_e32 v15, v14, v5
	s_delay_alu instid0(VALU_DEP_1) | instskip(NEXT) | instid1(VALU_DEP_1)
	v_mul_f32_e32 v16, v13, v15
	v_fma_f32 v12, v15, v13, -v16
	s_delay_alu instid0(VALU_DEP_1) | instskip(NEXT) | instid1(VALU_DEP_1)
	v_fmac_f32_e32 v12, v15, v7
	v_add_f32_e32 v17, v16, v12
	s_delay_alu instid0(VALU_DEP_1) | instskip(SKIP_1) | instid1(VALU_DEP_2)
	v_sub_f32_e32 v18, v14, v17
	v_sub_f32_e32 v6, v17, v16
	;; [unrolled: 1-line block ×3, first 2 shown]
	s_delay_alu instid0(VALU_DEP_2) | instskip(NEXT) | instid1(VALU_DEP_2)
	v_sub_f32_e32 v6, v6, v12
	v_sub_f32_e32 v14, v14, v17
	s_delay_alu instid0(VALU_DEP_1) | instskip(NEXT) | instid1(VALU_DEP_1)
	v_add_f32_e32 v1, v1, v14
	v_add_f32_e32 v1, v6, v1
	s_delay_alu instid0(VALU_DEP_1) | instskip(NEXT) | instid1(VALU_DEP_1)
	v_add_f32_e32 v6, v18, v1
	v_mul_f32_e32 v12, v5, v6
	v_sub_f32_e32 v17, v18, v6
	v_add_co_u32 v18, null, 0x1715609d, v8
	s_delay_alu instid0(VALU_DEP_3) | instskip(NEXT) | instid1(VALU_DEP_3)
	v_mul_f32_e32 v14, v13, v12
	v_add_f32_e32 v1, v1, v17
	v_add_co_u32 v17, null, 0x5384540f, v8
	s_delay_alu instid0(VALU_DEP_3) | instskip(NEXT) | instid1(VALU_DEP_1)
	v_fma_f32 v13, v12, v13, -v14
	v_fmac_f32_e32 v13, v12, v7
	s_delay_alu instid0(VALU_DEP_1) | instskip(NEXT) | instid1(VALU_DEP_1)
	v_add_f32_e32 v7, v14, v13
	v_sub_f32_e32 v16, v6, v7
	s_delay_alu instid0(VALU_DEP_1) | instskip(NEXT) | instid1(VALU_DEP_1)
	v_sub_f32_e32 v6, v6, v16
	v_sub_f32_e32 v6, v6, v7
	s_delay_alu instid0(VALU_DEP_1) | instskip(SKIP_1) | instid1(VALU_DEP_1)
	v_dual_add_f32 v1, v1, v6 :: v_dual_add_f32 v6, v15, v12
	v_sub_f32_e32 v14, v7, v14
	v_dual_sub_f32 v7, v14, v13 :: v_dual_and_b32 v14, 3, v2
	s_delay_alu instid0(VALU_DEP_1) | instskip(NEXT) | instid1(VALU_DEP_4)
	v_add_f32_e32 v1, v7, v1
	v_sub_f32_e32 v7, v6, v15
	s_delay_alu instid0(VALU_DEP_2) | instskip(NEXT) | instid1(VALU_DEP_2)
	v_add_f32_e32 v1, v16, v1
	v_dual_sub_f32 v7, v12, v7 :: v_dual_add_nc_u32 v16, 0x96a522ad, v9
	s_delay_alu instid0(VALU_DEP_2) | instskip(NEXT) | instid1(VALU_DEP_1)
	v_mul_f32_e32 v1, v5, v1
	v_add_f32_e32 v1, v7, v1
	s_delay_alu instid0(VALU_DEP_1) | instskip(NEXT) | instid1(VALU_DEP_1)
	v_add_f32_e32 v5, v6, v1
	v_mul_f32_e32 v7, v5, v5
	s_delay_alu instid0(VALU_DEP_1) | instskip(SKIP_2) | instid1(VALU_DEP_2)
	v_fmaak_f32 v12, s1, v7, 0x3ecc95a3
	v_mul_f32_e32 v13, v5, v7
	s_lshl_b32 s1, s8, 1
	v_fmaak_f32 v7, v7, v12, 0x3f2aaada
	v_ldexp_f32 v12, v5, 1
	v_sub_f32_e32 v5, v5, v6
	s_delay_alu instid0(VALU_DEP_3) | instskip(SKIP_1) | instid1(VALU_DEP_3)
	v_mul_f32_e32 v7, v13, v7
	v_mul_f32_e32 v13, 0x3f317218, v4
	v_sub_f32_e32 v5, v1, v5
	v_mad_u64_u32 v[1:2], null, 0xcd9e8d57, v10, 0
	s_delay_alu instid0(VALU_DEP_4) | instskip(NEXT) | instid1(VALU_DEP_4)
	v_add_f32_e32 v6, v12, v7
	v_fma_f32 v3, 0x3f317218, v4, -v13
	s_delay_alu instid0(VALU_DEP_4) | instskip(NEXT) | instid1(VALU_DEP_3)
	v_ldexp_f32 v5, v5, 1
	v_sub_f32_e32 v12, v6, v12
	v_xor3_b32 v2, v8, v2, v22
	s_delay_alu instid0(VALU_DEP_2) | instskip(SKIP_1) | instid1(VALU_DEP_2)
	v_dual_sub_f32 v7, v7, v12 :: v_dual_fmamk_f32 v12, v4, 0xb102e308, v3
	v_mad_u64_u32 v[3:4], null, 0xd2511f53, v21, 0
	v_add_f32_e32 v7, v5, v7
	s_delay_alu instid0(VALU_DEP_1) | instskip(SKIP_1) | instid1(VALU_DEP_4)
	v_dual_add_f32 v28, v13, v12 :: v_dual_add_f32 v29, v6, v7
	v_add_nc_u32_e32 v15, 0x8ff34781, v8
	v_xor_b32_e32 v31, v4, v9
	v_mad_u64_u32 v[4:5], null, 0xd2511f53, v2, 0
	s_delay_alu instid0(VALU_DEP_4) | instskip(SKIP_1) | instid1(VALU_DEP_4)
	v_add_f32_e32 v30, v28, v29
	v_dual_sub_f32 v13, v28, v13 :: v_dual_sub_f32 v6, v29, v6
	v_xor_b32_e32 v31, v31, v11
	s_delay_alu instid0(VALU_DEP_3) | instskip(NEXT) | instid1(VALU_DEP_3)
	v_sub_f32_e32 v2, v30, v28
	v_dual_sub_f32 v36, v12, v13 :: v_dual_sub_f32 v7, v7, v6
	v_xor3_b32 v35, v27, v5, v3
	s_delay_alu instid0(VALU_DEP_3) | instskip(SKIP_3) | instid1(VALU_DEP_4)
	v_sub_f32_e32 v34, v30, v2
	v_sub_f32_e32 v12, v29, v2
	v_mad_u64_u32 v[2:3], null, 0xcd9e8d57, v31, 0
	v_add_f32_e32 v29, v36, v7
	v_sub_f32_e32 v13, v28, v34
	v_mad_u64_u32 v[5:6], null, 0xcd9e8d57, v35, 0
	s_delay_alu instid0(VALU_DEP_2) | instskip(SKIP_3) | instid1(VALU_DEP_4)
	v_add_f32_e32 v28, v12, v13
	v_mad_u64_u32 v[12:13], null, s15, s10, v[0:1]
	v_sub_f32_e32 v13, v29, v36
	v_xor3_b32 v3, v20, v3, v1
	v_add_f32_e32 v31, v29, v28
	v_xor3_b32 v34, v23, v6, v2
	v_add_co_u32 v28, null, 0x76cf5d0a, v40
	s_delay_alu instid0(VALU_DEP_3) | instskip(SKIP_2) | instid1(VALU_DEP_3)
	v_dual_sub_f32 v6, v29, v13 :: v_dual_add_f32 v35, v30, v31
	v_mad_u64_u32 v[1:2], null, 0xd2511f53, v3, 0
	v_sub_f32_e32 v3, v7, v13
	v_sub_f32_e32 v13, v36, v6
	s_delay_alu instid0(VALU_DEP_4) | instskip(SKIP_2) | instid1(VALU_DEP_4)
	v_sub_f32_e32 v30, v35, v30
	v_mad_u64_u32 v[6:7], null, 0xd2511f53, v34, 0
	v_add_co_u32 v29, null, 0x32370b8f, v40
	v_add_f32_e32 v3, v3, v13
	s_delay_alu instid0(VALU_DEP_4)
	v_sub_f32_e32 v13, v31, v30
	v_xor3_b32 v4, v28, v2, v4
	v_mul_f32_e32 v34, 0x3f317217, v33
	v_xor3_b32 v7, v29, v7, v1
	v_add_co_u32 v30, null, 0xed9eba14, v40
	v_add_f32_e32 v13, v3, v13
	v_mad_u64_u32 v[1:2], null, 0xcd9e8d57, v4, 0
	s_delay_alu instid0(VALU_DEP_4) | instskip(NEXT) | instid1(VALU_DEP_3)
	v_mad_u64_u32 v[3:4], null, 0xcd9e8d57, v7, 0
	v_add_f32_e32 v7, v35, v13
	v_fma_f32 v36, 0x3f317217, v33, -v34
	v_add_co_u32 v31, null, 0xa9066899, v40
	v_xor3_b32 v5, v19, v2, v5
	s_delay_alu instid0(VALU_DEP_4)
	v_cndmask_b32_e64 v7, v7, -v32, vcc_lo
	v_cmp_nlt_f32_e32 vcc_lo, 1.0, v32
	v_xor3_b32 v13, v24, v4, v1
	v_fmac_f32_e32 v36, 0x3377d1cf, v33
	v_mad_u64_u32 v[1:2], null, 0xd2511f53, v5, 0
	v_cndmask_b32_e32 v7, 0x7fc00000, v7, vcc_lo
	v_cmp_neq_f32_e32 vcc_lo, 1.0, v32
	s_delay_alu instid0(VALU_DEP_4)
	v_add_f32_e32 v34, v34, v36
	v_mad_u64_u32 v[4:5], null, 0xd2511f53, v13, 0
	v_add_co_u32 v35, null, 0x1fd5c5a3, v40
	v_cndmask_b32_e32 v7, 0xff800000, v7, vcc_lo
	v_cmp_gt_f32_e64 vcc_lo, 0x7f800000, |v33|
	v_xor3_b32 v2, v30, v2, v6
	v_xor3_b32 v5, v31, v5, v1
	s_delay_alu instid0(VALU_DEP_4) | instskip(SKIP_1) | instid1(VALU_DEP_4)
	v_cndmask_b32_e64 v32, v7, -v32, s14
	v_cndmask_b32_e32 v13, v33, v34, vcc_lo
	v_mad_u64_u32 v[6:7], null, 0xcd9e8d57, v2, 0
	s_delay_alu instid0(VALU_DEP_4) | instskip(NEXT) | instid1(VALU_DEP_3)
	v_mad_u64_u32 v[1:2], null, 0xcd9e8d57, v5, 0
	v_div_scale_f32 v45, null, v32, v32, v13
	v_add_co_u32 v34, null, 0x646e171e, v40
	s_delay_alu instid0(VALU_DEP_4) | instskip(NEXT) | instid1(VALU_DEP_3)
	v_xor3_b32 v3, v18, v7, v3
	v_rcp_f32_e32 v46, v45
	s_delay_alu instid0(VALU_DEP_4) | instskip(SKIP_1) | instid1(VALU_DEP_3)
	v_xor3_b32 v5, v25, v2, v6
	v_div_scale_f32 v47, vcc_lo, v13, v32, v13
	v_mad_u64_u32 v[36:37], null, 0xd2511f53, v3, 0
	s_delay_alu instid0(VALU_DEP_3)
	v_mad_u64_u32 v[2:3], null, 0xd2511f53, v5, 0
	v_mad_u64_u32 v[38:39], null, s13, s10, v[0:1]
	s_waitcnt_depctr 0xfff
	v_fma_f32 v6, -v45, v46, 1.0
	s_lshl_b32 s14, s11, 1
	v_xor3_b32 v7, v34, v37, v4
	s_add_i32 s15, s15, s14
	v_xor3_b32 v3, v35, v3, v36
	v_fmac_f32_e32 v46, v6, v46
	v_add_co_u32 v36, null, 0xdb3d7428, v40
	v_mad_u64_u32 v[4:5], null, 0xcd9e8d57, v7, 0
	v_mad_u64_u32 v[6:7], null, s16, s10, v[0:1]
	s_delay_alu instid0(VALU_DEP_4)
	v_mul_f32_e32 v7, v47, v46
	v_mad_u64_u32 v[41:42], null, 0xcd9e8d57, v3, 0
	s_waitcnt lgkmcnt(0)
	v_mul_lo_u32 v37, s12, v12
	v_xor3_b32 v1, v17, v5, v1
	v_fma_f32 v5, -v45, v7, v47
	v_mul_lo_u32 v38, s12, v38
	s_mul_i32 s11, s11, s12
	v_mov_b32_e32 v33, v10
	v_mad_u64_u32 v[43:44], null, 0xd2511f53, v1, 0
	v_fmac_f32_e32 v7, v5, v46
	v_mad_u64_u32 v[39:40], null, s15, s10, v[0:1]
	v_xor3_b32 v3, v26, v42, v4
	v_mov_b32_e32 v42, v11
	s_delay_alu instid0(VALU_DEP_4)
	v_fma_f32 v0, -v45, v7, v47
	v_xor3_b32 v2, v36, v44, v2
	v_mul_lo_u32 v40, s12, v6
	s_mul_i32 s11, s11, s10
	v_mul_lo_u32 v39, s12, v39
	v_div_fmas_f32 v7, v0, v46, v7
	v_mad_u64_u32 v[4:5], null, 0xcd9e8d57, v2, 0
	v_mad_u64_u32 v[0:1], null, 0xd2511f53, v3, 0
	s_delay_alu instid0(VALU_DEP_3) | instskip(SKIP_3) | instid1(VALU_DEP_3)
	v_div_fixup_f32 v2, v7, v32, v13
	s_mul_i32 s10, s8, 3
	s_lshl_b32 s11, s11, 2
	s_mov_b32 s12, 0
	v_xor3_b32 v3, v5, v41, v15
	v_ceil_f32_e32 v2, v2
	s_delay_alu instid0(VALU_DEP_4) | instskip(SKIP_1) | instid1(VALU_DEP_3)
	v_mov_b32_e32 v6, v0
	v_xor3_b32 v5, v1, v43, v16
	v_cvt_i32_f32_e32 v41, v2
	s_branch .LBB8_8
.LBB8_7:                                ;   in Loop: Header=BB8_8 Depth=1
	s_or_b32 exec_lo, exec_lo, s13
	v_add_co_u32 v10, vcc_lo, v10, s9
	v_add_co_ci_u32_e32 v11, vcc_lo, 0, v11, vcc_lo
	v_mov_b32_e32 v3, v12
	s_add_i32 s12, s12, s11
	s_waitcnt_vscnt null, 0x0
	s_delay_alu instid0(VALU_DEP_2)
	v_cmp_le_i64_e32 vcc_lo, s[2:3], v[10:11]
	s_barrier
	v_mov_b32_e32 v6, v3
	v_dual_mov_b32 v5, v2 :: v_dual_mov_b32 v4, v1
	v_mov_b32_e32 v3, v0
	s_or_b32 s0, vcc_lo, s0
	buffer_gl0_inv
	s_and_not1_b32 exec_lo, exec_lo, s0
	s_cbranch_execz .LBB8_26
.LBB8_8:                                ; =>This Inner Loop Header: Depth=1
	v_add_co_u32 v21, vcc_lo, v21, 1
	s_delay_alu instid0(VALU_DEP_1) | instskip(SKIP_2) | instid1(VALU_DEP_1)
	v_cndmask_b32_e64 v0, 0, 1, vcc_lo
	v_add_co_ci_u32_e32 v22, vcc_lo, 0, v22, vcc_lo
	s_mov_b32 s13, exec_lo
	v_cmp_eq_u32_e32 vcc_lo, 0, v22
	s_delay_alu instid0(VALU_DEP_3) | instskip(NEXT) | instid1(VALU_DEP_1)
	v_cndmask_b32_e32 v0, 0, v0, vcc_lo
	v_add_nc_u32_e32 v33, v0, v33
	s_delay_alu instid0(VALU_DEP_1) | instskip(SKIP_2) | instid1(VALU_DEP_2)
	v_cmp_eq_u32_e32 vcc_lo, 0, v33
	v_cndmask_b32_e32 v0, 0, v0, vcc_lo
	v_mad_u64_u32 v[12:13], null, 0xcd9e8d57, v33, 0
	v_add_nc_u32_e32 v42, v0, v42
	v_mad_u64_u32 v[0:1], null, 0xd2511f53, v21, 0
	s_delay_alu instid0(VALU_DEP_3) | instskip(NEXT) | instid1(VALU_DEP_2)
	v_xor3_b32 v7, v13, v8, v22
	v_xor_b32_e32 v1, v1, v9
	s_delay_alu instid0(VALU_DEP_1) | instskip(NEXT) | instid1(VALU_DEP_3)
	v_xor_b32_e32 v13, v42, v1
	v_mad_u64_u32 v[1:2], null, 0xd2511f53, v7, 0
	s_delay_alu instid0(VALU_DEP_2) | instskip(NEXT) | instid1(VALU_DEP_2)
	v_mad_u64_u32 v[43:44], null, 0xcd9e8d57, v13, 0
	v_xor3_b32 v0, v27, v2, v0
	s_delay_alu instid0(VALU_DEP_2) | instskip(NEXT) | instid1(VALU_DEP_2)
	v_xor3_b32 v2, v20, v44, v12
	v_mad_u64_u32 v[12:13], null, 0xcd9e8d57, v0, 0
	s_delay_alu instid0(VALU_DEP_2) | instskip(NEXT) | instid1(VALU_DEP_2)
	v_mad_u64_u32 v[44:45], null, 0xd2511f53, v2, 0
	v_xor3_b32 v2, v23, v13, v43
	s_delay_alu instid0(VALU_DEP_2) | instskip(NEXT) | instid1(VALU_DEP_2)
	v_xor3_b32 v7, v28, v45, v1
	;; [unrolled: 6-line block ×9, first 2 shown]
	v_mov_b32_e32 v2, v7
	v_cmpx_lt_i32_e32 1, v14
	s_xor_b32 s13, exec_lo, s13
	s_cbranch_execnz .LBB8_18
; %bb.9:                                ;   in Loop: Header=BB8_8 Depth=1
	s_and_not1_saveexec_b32 s13, s13
	s_cbranch_execnz .LBB8_23
.LBB8_10:                               ;   in Loop: Header=BB8_8 Depth=1
	s_or_b32 exec_lo, exec_lo, s13
	s_delay_alu instid0(SALU_CYCLE_1)
	s_mov_b32 s13, exec_lo
	v_cmpx_gt_i64_e64 s[4:5], v[10:11]
	s_cbranch_execz .LBB8_12
.LBB8_11:                               ;   in Loop: Header=BB8_8 Depth=1
	v_lshrrev_b32_e32 v4, 11, v4
	s_delay_alu instid0(VALU_DEP_1) | instskip(SKIP_1) | instid1(VALU_DEP_2)
	v_cvt_f64_u32_e32 v[43:44], v4
	v_cvt_f64_u32_e32 v[3:4], v3
	v_ldexp_f64 v[43:44], v[43:44], 32
	s_delay_alu instid0(VALU_DEP_1) | instskip(NEXT) | instid1(VALU_DEP_1)
	v_add_f64 v[3:4], v[43:44], v[3:4]
	v_fma_f64 v[3:4], 0x3ca00000, v[3:4], 0x3ca00000
	s_delay_alu instid0(VALU_DEP_1) | instskip(NEXT) | instid1(VALU_DEP_1)
	v_cvt_f32_f64_e32 v3, v[3:4]
	v_cmp_gt_f32_e32 vcc_lo, 0x800000, v3
	v_cndmask_b32_e64 v4, 1.0, 0x4f800000, vcc_lo
	s_delay_alu instid0(VALU_DEP_1) | instskip(NEXT) | instid1(VALU_DEP_1)
	v_mul_f32_e32 v3, v3, v4
	v_log_f32_e32 v3, v3
	s_waitcnt_depctr 0xfff
	v_mul_f32_e32 v4, 0x3f317217, v3
	s_delay_alu instid0(VALU_DEP_1) | instskip(NEXT) | instid1(VALU_DEP_1)
	v_fma_f32 v7, 0x3f317217, v3, -v4
	v_fmac_f32_e32 v7, 0x3377d1cf, v3
	s_delay_alu instid0(VALU_DEP_1) | instskip(SKIP_2) | instid1(VALU_DEP_3)
	v_add_f32_e32 v4, v4, v7
	v_cndmask_b32_e64 v7, 0, 0x41b17218, vcc_lo
	v_cmp_gt_f32_e64 vcc_lo, 0x7f800000, |v3|
	v_cndmask_b32_e32 v3, v3, v4, vcc_lo
	s_delay_alu instid0(VALU_DEP_1) | instskip(NEXT) | instid1(VALU_DEP_1)
	v_sub_f32_e32 v3, v3, v7
	v_div_scale_f32 v4, null, v32, v32, v3
	s_delay_alu instid0(VALU_DEP_1) | instskip(SKIP_2) | instid1(VALU_DEP_1)
	v_rcp_f32_e32 v7, v4
	s_waitcnt_depctr 0xfff
	v_fma_f32 v13, -v4, v7, 1.0
	v_fmac_f32_e32 v7, v13, v7
	v_div_scale_f32 v13, vcc_lo, v3, v32, v3
	s_delay_alu instid0(VALU_DEP_1) | instskip(NEXT) | instid1(VALU_DEP_1)
	v_mul_f32_e32 v43, v13, v7
	v_fma_f32 v44, -v4, v43, v13
	s_delay_alu instid0(VALU_DEP_1) | instskip(NEXT) | instid1(VALU_DEP_1)
	v_fmac_f32_e32 v43, v44, v7
	v_fma_f32 v4, -v4, v43, v13
	s_delay_alu instid0(VALU_DEP_1) | instskip(SKIP_1) | instid1(VALU_DEP_2)
	v_div_fmas_f32 v4, v4, v7, v43
	v_add_nc_u32_e32 v7, s12, v37
	v_div_fixup_f32 v3, v4, v32, v3
	s_delay_alu instid0(VALU_DEP_2) | instskip(NEXT) | instid1(VALU_DEP_2)
	v_ashrrev_i32_e32 v4, 31, v7
	v_ceil_f32_e32 v13, v3
	v_add_co_u32 v3, vcc_lo, s6, v7
	s_delay_alu instid0(VALU_DEP_3) | instskip(NEXT) | instid1(VALU_DEP_3)
	v_add_co_ci_u32_e32 v4, vcc_lo, s7, v4, vcc_lo
	v_cvt_i32_f32_e32 v7, v13
	global_store_b32 v[3:4], v7, off
.LBB8_12:                               ;   in Loop: Header=BB8_8 Depth=1
	s_or_b32 exec_lo, exec_lo, s13
	v_add_co_u32 v3, vcc_lo, s8, v10
	v_add_co_ci_u32_e32 v4, vcc_lo, 0, v11, vcc_lo
	s_mov_b32 s13, exec_lo
	s_delay_alu instid0(VALU_DEP_1)
	v_cmpx_gt_i64_e64 s[4:5], v[3:4]
	s_cbranch_execz .LBB8_14
; %bb.13:                               ;   in Loop: Header=BB8_8 Depth=1
	v_lshrrev_b32_e32 v3, 11, v6
	v_cvt_f64_u32_e32 v[5:6], v5
	s_delay_alu instid0(VALU_DEP_2) | instskip(NEXT) | instid1(VALU_DEP_1)
	v_cvt_f64_u32_e32 v[3:4], v3
	v_ldexp_f64 v[3:4], v[3:4], 32
	s_delay_alu instid0(VALU_DEP_1) | instskip(NEXT) | instid1(VALU_DEP_1)
	v_add_f64 v[3:4], v[3:4], v[5:6]
	v_fma_f64 v[3:4], 0x3ca00000, v[3:4], 0x3ca00000
	s_delay_alu instid0(VALU_DEP_1) | instskip(NEXT) | instid1(VALU_DEP_1)
	v_cvt_f32_f64_e32 v3, v[3:4]
	v_cmp_gt_f32_e32 vcc_lo, 0x800000, v3
	v_cndmask_b32_e64 v4, 1.0, 0x4f800000, vcc_lo
	s_delay_alu instid0(VALU_DEP_1) | instskip(NEXT) | instid1(VALU_DEP_1)
	v_mul_f32_e32 v3, v3, v4
	v_log_f32_e32 v3, v3
	s_waitcnt_depctr 0xfff
	v_mul_f32_e32 v4, 0x3f317217, v3
	s_delay_alu instid0(VALU_DEP_1) | instskip(NEXT) | instid1(VALU_DEP_1)
	v_fma_f32 v5, 0x3f317217, v3, -v4
	v_fmac_f32_e32 v5, 0x3377d1cf, v3
	s_delay_alu instid0(VALU_DEP_1) | instskip(SKIP_2) | instid1(VALU_DEP_3)
	v_add_f32_e32 v4, v4, v5
	v_cndmask_b32_e64 v5, 0, 0x41b17218, vcc_lo
	v_cmp_gt_f32_e64 vcc_lo, 0x7f800000, |v3|
	v_cndmask_b32_e32 v3, v3, v4, vcc_lo
	s_delay_alu instid0(VALU_DEP_1) | instskip(NEXT) | instid1(VALU_DEP_1)
	v_sub_f32_e32 v3, v3, v5
	v_div_scale_f32 v4, null, v32, v32, v3
	s_delay_alu instid0(VALU_DEP_1) | instskip(SKIP_2) | instid1(VALU_DEP_1)
	v_rcp_f32_e32 v5, v4
	s_waitcnt_depctr 0xfff
	v_fma_f32 v6, -v4, v5, 1.0
	v_fmac_f32_e32 v5, v6, v5
	v_div_scale_f32 v6, vcc_lo, v3, v32, v3
	s_delay_alu instid0(VALU_DEP_1) | instskip(NEXT) | instid1(VALU_DEP_1)
	v_mul_f32_e32 v7, v6, v5
	v_fma_f32 v13, -v4, v7, v6
	s_delay_alu instid0(VALU_DEP_1) | instskip(NEXT) | instid1(VALU_DEP_1)
	v_fmac_f32_e32 v7, v13, v5
	v_fma_f32 v4, -v4, v7, v6
	s_delay_alu instid0(VALU_DEP_1) | instskip(SKIP_1) | instid1(VALU_DEP_2)
	v_div_fmas_f32 v4, v4, v5, v7
	v_add_nc_u32_e32 v5, s12, v40
	v_div_fixup_f32 v3, v4, v32, v3
	s_delay_alu instid0(VALU_DEP_2) | instskip(NEXT) | instid1(VALU_DEP_2)
	v_ashrrev_i32_e32 v4, 31, v5
	v_ceil_f32_e32 v6, v3
	v_add_co_u32 v3, vcc_lo, s6, v5
	s_delay_alu instid0(VALU_DEP_3) | instskip(NEXT) | instid1(VALU_DEP_3)
	v_add_co_ci_u32_e32 v4, vcc_lo, s7, v4, vcc_lo
	v_cvt_i32_f32_e32 v5, v6
	global_store_b32 v[3:4], v5, off
.LBB8_14:                               ;   in Loop: Header=BB8_8 Depth=1
	s_or_b32 exec_lo, exec_lo, s13
	v_add_co_u32 v3, vcc_lo, s1, v10
	v_add_co_ci_u32_e32 v4, vcc_lo, 0, v11, vcc_lo
	s_mov_b32 s13, exec_lo
	s_delay_alu instid0(VALU_DEP_1)
	v_cmpx_gt_i64_e64 s[4:5], v[3:4]
	s_cbranch_execz .LBB8_16
; %bb.15:                               ;   in Loop: Header=BB8_8 Depth=1
	v_add_nc_u32_e32 v3, s12, v39
	s_delay_alu instid0(VALU_DEP_1) | instskip(SKIP_1) | instid1(VALU_DEP_2)
	v_ashrrev_i32_e32 v4, 31, v3
	v_add_co_u32 v3, vcc_lo, s6, v3
	v_add_co_ci_u32_e32 v4, vcc_lo, s7, v4, vcc_lo
	global_store_b32 v[3:4], v41, off
.LBB8_16:                               ;   in Loop: Header=BB8_8 Depth=1
	s_or_b32 exec_lo, exec_lo, s13
	v_add_co_u32 v3, vcc_lo, s10, v10
	v_add_co_ci_u32_e32 v4, vcc_lo, 0, v11, vcc_lo
	s_mov_b32 s13, exec_lo
	s_delay_alu instid0(VALU_DEP_1)
	v_cmpx_gt_i64_e64 s[4:5], v[3:4]
	s_cbranch_execz .LBB8_7
; %bb.17:                               ;   in Loop: Header=BB8_8 Depth=1
	v_add_nc_u32_e32 v3, s12, v38
	s_delay_alu instid0(VALU_DEP_1) | instskip(SKIP_1) | instid1(VALU_DEP_2)
	v_ashrrev_i32_e32 v4, 31, v3
	v_add_co_u32 v3, vcc_lo, s6, v3
	v_add_co_ci_u32_e32 v4, vcc_lo, s7, v4, vcc_lo
	global_store_b32 v[3:4], v41, off
	s_branch .LBB8_7
.LBB8_18:                               ;   in Loop: Header=BB8_8 Depth=1
	s_mov_b32 s14, exec_lo
	v_cmpx_lt_i32_e32 2, v14
	s_xor_b32 s14, exec_lo, s14
; %bb.19:                               ;   in Loop: Header=BB8_8 Depth=1
	v_dual_mov_b32 v4, v6 :: v_dual_mov_b32 v5, v0
	v_mov_b32_e32 v6, v1
	s_delay_alu instid0(VALU_DEP_2) | instskip(NEXT) | instid1(VALU_DEP_3)
	v_mov_b32_e32 v3, v4
	v_mov_b32_e32 v4, v5
	s_delay_alu instid0(VALU_DEP_3)
	v_mov_b32_e32 v5, v6
	v_mov_b32_e32 v6, v7
; %bb.20:                               ;   in Loop: Header=BB8_8 Depth=1
	s_and_not1_saveexec_b32 s14, s14
; %bb.21:                               ;   in Loop: Header=BB8_8 Depth=1
	s_delay_alu instid0(VALU_DEP_1)
	v_dual_mov_b32 v3, v5 :: v_dual_mov_b32 v4, v6
	v_dual_mov_b32 v5, v0 :: v_dual_mov_b32 v6, v1
; %bb.22:                               ;   in Loop: Header=BB8_8 Depth=1
	s_or_b32 exec_lo, exec_lo, s14
	s_and_not1_saveexec_b32 s13, s13
	s_cbranch_execz .LBB8_10
.LBB8_23:                               ;   in Loop: Header=BB8_8 Depth=1
	s_mov_b32 s14, exec_lo
	v_cmpx_eq_u32_e32 1, v14
; %bb.24:                               ;   in Loop: Header=BB8_8 Depth=1
	v_dual_mov_b32 v3, v4 :: v_dual_mov_b32 v4, v5
	v_dual_mov_b32 v5, v6 :: v_dual_mov_b32 v6, v0
; %bb.25:                               ;   in Loop: Header=BB8_8 Depth=1
	s_or_b32 exec_lo, exec_lo, s14
	s_delay_alu instid0(SALU_CYCLE_1) | instskip(NEXT) | instid1(SALU_CYCLE_1)
	s_or_b32 exec_lo, exec_lo, s13
	s_mov_b32 s13, exec_lo
	v_cmpx_gt_i64_e64 s[4:5], v[10:11]
	s_cbranch_execnz .LBB8_11
	s_branch .LBB8_12
.LBB8_26:
	s_endpgm
.LBB8_27:
                                        ; implicit-def: $sgpr2_sgpr3
	s_branch .LBB8_4
	.section	.rodata,"a",@progbits
	.p2align	6, 0x0
	.amdhsa_kernel _ZN2at6native12_GLOBAL__N_143distribution_elementwise_grid_stride_kernelIfLi4EZNS0_9templates4cuda21uniform_and_transformIifPNS_17CUDAGeneratorImplEZZZNS4_16geometric_kernelIS7_EEvRNS_18TensorIteratorBaseEdT_ENKUlvE_clEvENKUlvE1_clEvEUlfE_EEvSA_T1_T2_EUlP25hiprandStatePhilox4_32_10E_ZNS1_27distribution_nullary_kernelIif15HIP_vector_typeIdLj2EES7_SJ_SE_EEvSA_SG_RKT3_T4_EUlifE_EEvlNS_15PhiloxCudaStateESF_SG_
		.amdhsa_group_segment_fixed_size 0
		.amdhsa_private_segment_fixed_size 0
		.amdhsa_kernarg_size 328
		.amdhsa_user_sgpr_count 15
		.amdhsa_user_sgpr_dispatch_ptr 0
		.amdhsa_user_sgpr_queue_ptr 0
		.amdhsa_user_sgpr_kernarg_segment_ptr 1
		.amdhsa_user_sgpr_dispatch_id 0
		.amdhsa_user_sgpr_private_segment_size 0
		.amdhsa_wavefront_size32 1
		.amdhsa_uses_dynamic_stack 0
		.amdhsa_enable_private_segment 0
		.amdhsa_system_sgpr_workgroup_id_x 1
		.amdhsa_system_sgpr_workgroup_id_y 0
		.amdhsa_system_sgpr_workgroup_id_z 0
		.amdhsa_system_sgpr_workgroup_info 0
		.amdhsa_system_vgpr_workitem_id 0
		.amdhsa_next_free_vgpr 48
		.amdhsa_next_free_sgpr 23
		.amdhsa_reserve_vcc 1
		.amdhsa_float_round_mode_32 0
		.amdhsa_float_round_mode_16_64 0
		.amdhsa_float_denorm_mode_32 3
		.amdhsa_float_denorm_mode_16_64 3
		.amdhsa_dx10_clamp 1
		.amdhsa_ieee_mode 1
		.amdhsa_fp16_overflow 0
		.amdhsa_workgroup_processor_mode 1
		.amdhsa_memory_ordered 1
		.amdhsa_forward_progress 0
		.amdhsa_shared_vgpr_count 0
		.amdhsa_exception_fp_ieee_invalid_op 0
		.amdhsa_exception_fp_denorm_src 0
		.amdhsa_exception_fp_ieee_div_zero 0
		.amdhsa_exception_fp_ieee_overflow 0
		.amdhsa_exception_fp_ieee_underflow 0
		.amdhsa_exception_fp_ieee_inexact 0
		.amdhsa_exception_int_div_zero 0
	.end_amdhsa_kernel
	.section	.text._ZN2at6native12_GLOBAL__N_143distribution_elementwise_grid_stride_kernelIfLi4EZNS0_9templates4cuda21uniform_and_transformIifPNS_17CUDAGeneratorImplEZZZNS4_16geometric_kernelIS7_EEvRNS_18TensorIteratorBaseEdT_ENKUlvE_clEvENKUlvE1_clEvEUlfE_EEvSA_T1_T2_EUlP25hiprandStatePhilox4_32_10E_ZNS1_27distribution_nullary_kernelIif15HIP_vector_typeIdLj2EES7_SJ_SE_EEvSA_SG_RKT3_T4_EUlifE_EEvlNS_15PhiloxCudaStateESF_SG_,"axG",@progbits,_ZN2at6native12_GLOBAL__N_143distribution_elementwise_grid_stride_kernelIfLi4EZNS0_9templates4cuda21uniform_and_transformIifPNS_17CUDAGeneratorImplEZZZNS4_16geometric_kernelIS7_EEvRNS_18TensorIteratorBaseEdT_ENKUlvE_clEvENKUlvE1_clEvEUlfE_EEvSA_T1_T2_EUlP25hiprandStatePhilox4_32_10E_ZNS1_27distribution_nullary_kernelIif15HIP_vector_typeIdLj2EES7_SJ_SE_EEvSA_SG_RKT3_T4_EUlifE_EEvlNS_15PhiloxCudaStateESF_SG_,comdat
.Lfunc_end8:
	.size	_ZN2at6native12_GLOBAL__N_143distribution_elementwise_grid_stride_kernelIfLi4EZNS0_9templates4cuda21uniform_and_transformIifPNS_17CUDAGeneratorImplEZZZNS4_16geometric_kernelIS7_EEvRNS_18TensorIteratorBaseEdT_ENKUlvE_clEvENKUlvE1_clEvEUlfE_EEvSA_T1_T2_EUlP25hiprandStatePhilox4_32_10E_ZNS1_27distribution_nullary_kernelIif15HIP_vector_typeIdLj2EES7_SJ_SE_EEvSA_SG_RKT3_T4_EUlifE_EEvlNS_15PhiloxCudaStateESF_SG_, .Lfunc_end8-_ZN2at6native12_GLOBAL__N_143distribution_elementwise_grid_stride_kernelIfLi4EZNS0_9templates4cuda21uniform_and_transformIifPNS_17CUDAGeneratorImplEZZZNS4_16geometric_kernelIS7_EEvRNS_18TensorIteratorBaseEdT_ENKUlvE_clEvENKUlvE1_clEvEUlfE_EEvSA_T1_T2_EUlP25hiprandStatePhilox4_32_10E_ZNS1_27distribution_nullary_kernelIif15HIP_vector_typeIdLj2EES7_SJ_SE_EEvSA_SG_RKT3_T4_EUlifE_EEvlNS_15PhiloxCudaStateESF_SG_
                                        ; -- End function
	.section	.AMDGPU.csdata,"",@progbits
; Kernel info:
; codeLenInByte = 4180
; NumSgprs: 25
; NumVgprs: 48
; ScratchSize: 0
; MemoryBound: 0
; FloatMode: 240
; IeeeMode: 1
; LDSByteSize: 0 bytes/workgroup (compile time only)
; SGPRBlocks: 3
; VGPRBlocks: 5
; NumSGPRsForWavesPerEU: 25
; NumVGPRsForWavesPerEU: 48
; Occupancy: 16
; WaveLimiterHint : 0
; COMPUTE_PGM_RSRC2:SCRATCH_EN: 0
; COMPUTE_PGM_RSRC2:USER_SGPR: 15
; COMPUTE_PGM_RSRC2:TRAP_HANDLER: 0
; COMPUTE_PGM_RSRC2:TGID_X_EN: 1
; COMPUTE_PGM_RSRC2:TGID_Y_EN: 0
; COMPUTE_PGM_RSRC2:TGID_Z_EN: 0
; COMPUTE_PGM_RSRC2:TIDIG_COMP_CNT: 0
	.section	.text._ZN2at6native12_GLOBAL__N_143distribution_elementwise_grid_stride_kernelIfLi4EZNS0_9templates4cuda21uniform_and_transformIifPNS_17CUDAGeneratorImplEZZZNS4_16geometric_kernelIS7_EEvRNS_18TensorIteratorBaseEdT_ENKUlvE_clEvENKUlvE1_clEvEUlfE_EEvSA_T1_T2_EUlP25hiprandStatePhilox4_32_10E_ZNS1_27distribution_nullary_kernelIif15HIP_vector_typeIdLj2EES7_SJ_SE_EEvSA_SG_RKT3_T4_EUlifE0_EEvlNS_15PhiloxCudaStateESF_SG_,"axG",@progbits,_ZN2at6native12_GLOBAL__N_143distribution_elementwise_grid_stride_kernelIfLi4EZNS0_9templates4cuda21uniform_and_transformIifPNS_17CUDAGeneratorImplEZZZNS4_16geometric_kernelIS7_EEvRNS_18TensorIteratorBaseEdT_ENKUlvE_clEvENKUlvE1_clEvEUlfE_EEvSA_T1_T2_EUlP25hiprandStatePhilox4_32_10E_ZNS1_27distribution_nullary_kernelIif15HIP_vector_typeIdLj2EES7_SJ_SE_EEvSA_SG_RKT3_T4_EUlifE0_EEvlNS_15PhiloxCudaStateESF_SG_,comdat
	.globl	_ZN2at6native12_GLOBAL__N_143distribution_elementwise_grid_stride_kernelIfLi4EZNS0_9templates4cuda21uniform_and_transformIifPNS_17CUDAGeneratorImplEZZZNS4_16geometric_kernelIS7_EEvRNS_18TensorIteratorBaseEdT_ENKUlvE_clEvENKUlvE1_clEvEUlfE_EEvSA_T1_T2_EUlP25hiprandStatePhilox4_32_10E_ZNS1_27distribution_nullary_kernelIif15HIP_vector_typeIdLj2EES7_SJ_SE_EEvSA_SG_RKT3_T4_EUlifE0_EEvlNS_15PhiloxCudaStateESF_SG_ ; -- Begin function _ZN2at6native12_GLOBAL__N_143distribution_elementwise_grid_stride_kernelIfLi4EZNS0_9templates4cuda21uniform_and_transformIifPNS_17CUDAGeneratorImplEZZZNS4_16geometric_kernelIS7_EEvRNS_18TensorIteratorBaseEdT_ENKUlvE_clEvENKUlvE1_clEvEUlfE_EEvSA_T1_T2_EUlP25hiprandStatePhilox4_32_10E_ZNS1_27distribution_nullary_kernelIif15HIP_vector_typeIdLj2EES7_SJ_SE_EEvSA_SG_RKT3_T4_EUlifE0_EEvlNS_15PhiloxCudaStateESF_SG_
	.p2align	8
	.type	_ZN2at6native12_GLOBAL__N_143distribution_elementwise_grid_stride_kernelIfLi4EZNS0_9templates4cuda21uniform_and_transformIifPNS_17CUDAGeneratorImplEZZZNS4_16geometric_kernelIS7_EEvRNS_18TensorIteratorBaseEdT_ENKUlvE_clEvENKUlvE1_clEvEUlfE_EEvSA_T1_T2_EUlP25hiprandStatePhilox4_32_10E_ZNS1_27distribution_nullary_kernelIif15HIP_vector_typeIdLj2EES7_SJ_SE_EEvSA_SG_RKT3_T4_EUlifE0_EEvlNS_15PhiloxCudaStateESF_SG_,@function
_ZN2at6native12_GLOBAL__N_143distribution_elementwise_grid_stride_kernelIfLi4EZNS0_9templates4cuda21uniform_and_transformIifPNS_17CUDAGeneratorImplEZZZNS4_16geometric_kernelIS7_EEvRNS_18TensorIteratorBaseEdT_ENKUlvE_clEvENKUlvE1_clEvEUlfE_EEvSA_T1_T2_EUlP25hiprandStatePhilox4_32_10E_ZNS1_27distribution_nullary_kernelIif15HIP_vector_typeIdLj2EES7_SJ_SE_EEvSA_SG_RKT3_T4_EUlifE0_EEvlNS_15PhiloxCudaStateESF_SG_: ; @_ZN2at6native12_GLOBAL__N_143distribution_elementwise_grid_stride_kernelIfLi4EZNS0_9templates4cuda21uniform_and_transformIifPNS_17CUDAGeneratorImplEZZZNS4_16geometric_kernelIS7_EEvRNS_18TensorIteratorBaseEdT_ENKUlvE_clEvENKUlvE1_clEvEUlfE_EEvSA_T1_T2_EUlP25hiprandStatePhilox4_32_10E_ZNS1_27distribution_nullary_kernelIif15HIP_vector_typeIdLj2EES7_SJ_SE_EEvSA_SG_RKT3_T4_EUlifE0_EEvlNS_15PhiloxCudaStateESF_SG_
; %bb.0:
	s_clause 0x2
	s_load_b64 s[4:5], s[0:1], 0x10
	s_load_b128 s[16:19], s[0:1], 0x0
	s_load_b32 s2, s[0:1], 0x20
	s_waitcnt lgkmcnt(0)
	v_dual_mov_b32 v2, s4 :: v_dual_mov_b32 v3, s5
	v_dual_mov_b32 v8, s18 :: v_dual_mov_b32 v9, s19
	s_bitcmp0_b32 s2, 0
	s_mov_b32 s2, 0
	s_cbranch_scc1 .LBB9_2
; %bb.1:
	v_dual_mov_b32 v1, s4 :: v_dual_mov_b32 v2, s5
	v_dual_mov_b32 v4, s18 :: v_dual_mov_b32 v5, s19
	s_load_b64 s[4:5], s[0:1], 0x18
	flat_load_b64 v[2:3], v[1:2]
	flat_load_b64 v[8:9], v[4:5]
	s_waitcnt vmcnt(1) lgkmcnt(0)
	v_add_co_u32 v2, vcc_lo, v2, s4
	v_add_co_ci_u32_e32 v3, vcc_lo, s5, v3, vcc_lo
.LBB9_2:
	s_clause 0x1
	s_load_b32 s3, s[0:1], 0x154
	s_load_b32 s4, s[0:1], 0x148
	s_waitcnt lgkmcnt(0)
	s_and_b32 s5, s3, 0xffff
	s_add_u32 s6, s16, -1
	s_mul_i32 s24, s4, s5
	s_addc_u32 s3, s17, -1
	s_lshl_b32 s25, s24, 2
	s_cmp_lg_u64 s[2:3], 0
	s_cbranch_scc0 .LBB9_79
; %bb.3:
	v_cvt_f32_ubyte0_e32 v1, 0
	v_cvt_f32_u32_e32 v4, s25
	s_sub_u32 s8, 0, s25
	s_subb_u32 s9, 0, 0
	s_delay_alu instid0(VALU_DEP_1) | instskip(NEXT) | instid1(VALU_DEP_1)
	v_fmamk_f32 v1, v1, 0x4f800000, v4
	v_rcp_f32_e32 v1, v1
	s_waitcnt_depctr 0xfff
	v_mul_f32_e32 v1, 0x5f7ffffc, v1
	s_delay_alu instid0(VALU_DEP_1) | instskip(NEXT) | instid1(VALU_DEP_1)
	v_mul_f32_e32 v4, 0x2f800000, v1
	v_trunc_f32_e32 v4, v4
	s_delay_alu instid0(VALU_DEP_1) | instskip(SKIP_1) | instid1(VALU_DEP_2)
	v_fmamk_f32 v1, v4, 0xcf800000, v1
	v_cvt_u32_f32_e32 v4, v4
	v_cvt_u32_f32_e32 v1, v1
	s_delay_alu instid0(VALU_DEP_2) | instskip(NEXT) | instid1(VALU_DEP_2)
	v_readfirstlane_b32 s2, v4
	v_readfirstlane_b32 s7, v1
	s_delay_alu instid0(VALU_DEP_2) | instskip(NEXT) | instid1(VALU_DEP_1)
	s_mul_i32 s10, s8, s2
	s_mul_hi_u32 s12, s8, s7
	s_mul_i32 s11, s9, s7
	s_add_i32 s10, s12, s10
	s_mul_i32 s13, s8, s7
	s_add_i32 s10, s10, s11
	s_mul_hi_u32 s12, s7, s13
	s_mul_hi_u32 s14, s2, s13
	s_mul_i32 s11, s2, s13
	s_mul_hi_u32 s13, s7, s10
	s_mul_i32 s7, s7, s10
	s_mul_hi_u32 s18, s2, s10
	s_add_u32 s7, s12, s7
	s_addc_u32 s12, 0, s13
	s_add_u32 s7, s7, s11
	s_mul_i32 s10, s2, s10
	s_addc_u32 s7, s12, s14
	s_addc_u32 s11, s18, 0
	s_add_u32 s7, s7, s10
	s_addc_u32 s10, 0, s11
	v_add_co_u32 v1, s7, v1, s7
	s_delay_alu instid0(VALU_DEP_1) | instskip(SKIP_1) | instid1(VALU_DEP_1)
	s_cmp_lg_u32 s7, 0
	s_addc_u32 s2, s2, s10
	v_readfirstlane_b32 s7, v1
	s_mul_i32 s10, s8, s2
	s_delay_alu instid0(VALU_DEP_1)
	s_mul_hi_u32 s11, s8, s7
	s_mul_i32 s9, s9, s7
	s_add_i32 s10, s11, s10
	s_mul_i32 s8, s8, s7
	s_add_i32 s10, s10, s9
	s_mul_hi_u32 s11, s2, s8
	s_mul_i32 s12, s2, s8
	s_mul_hi_u32 s8, s7, s8
	s_mul_hi_u32 s13, s7, s10
	s_mul_i32 s7, s7, s10
	s_mul_hi_u32 s9, s2, s10
	s_add_u32 s7, s8, s7
	s_addc_u32 s8, 0, s13
	s_add_u32 s7, s7, s12
	s_mul_i32 s10, s2, s10
	s_addc_u32 s7, s8, s11
	s_addc_u32 s8, s9, 0
	s_add_u32 s7, s7, s10
	s_addc_u32 s8, 0, s8
	v_add_co_u32 v1, s7, v1, s7
	s_delay_alu instid0(VALU_DEP_1) | instskip(SKIP_2) | instid1(VALU_DEP_1)
	s_cmp_lg_u32 s7, 0
	s_addc_u32 s7, s2, s8
	s_ashr_i32 s8, s3, 31
	v_readfirstlane_b32 s10, v1
	s_add_u32 s2, s6, s8
	s_mov_b32 s9, s8
	s_addc_u32 s3, s3, s8
	s_delay_alu instid0(SALU_CYCLE_1) | instskip(NEXT) | instid1(SALU_CYCLE_1)
	s_xor_b64 s[2:3], s[2:3], s[8:9]
	s_mul_i32 s12, s2, s7
	s_mul_hi_u32 s13, s2, s10
	s_mul_hi_u32 s11, s2, s7
	;; [unrolled: 1-line block ×3, first 2 shown]
	s_mul_i32 s10, s3, s10
	s_add_u32 s12, s13, s12
	s_addc_u32 s11, 0, s11
	s_mul_hi_u32 s14, s3, s7
	s_add_u32 s10, s12, s10
	s_mul_i32 s7, s3, s7
	s_addc_u32 s10, s11, s18
	s_addc_u32 s11, s14, 0
	s_add_u32 s7, s10, s7
	s_addc_u32 s10, 0, s11
	s_mul_i32 s12, s25, s7
	s_add_u32 s11, s7, 1
	v_sub_co_u32 v1, s2, s2, s12
	s_mul_hi_u32 s12, s25, s7
	s_addc_u32 s13, s10, 0
	s_mul_i32 s14, s25, s10
	s_delay_alu instid0(VALU_DEP_1)
	v_sub_co_u32 v4, s18, v1, s25
	s_add_u32 s19, s7, 2
	s_addc_u32 s20, s10, 0
	s_add_i32 s12, s12, s14
	s_cmp_lg_u32 s2, 0
	v_readfirstlane_b32 s2, v4
	s_subb_u32 s3, s3, s12
	s_cmp_lg_u32 s18, 0
	s_subb_u32 s12, s3, 0
	s_delay_alu instid0(VALU_DEP_1) | instskip(SKIP_4) | instid1(SALU_CYCLE_1)
	s_cmp_ge_u32 s2, s25
	s_cselect_b32 s2, -1, 0
	s_cmp_eq_u32 s12, 0
	v_readfirstlane_b32 s12, v1
	s_cselect_b32 s2, s2, -1
	s_cmp_lg_u32 s2, 0
	s_cselect_b32 s2, s19, s11
	s_cselect_b32 s11, s20, s13
	s_cmp_ge_u32 s12, s25
	s_cselect_b32 s12, -1, 0
	s_cmp_eq_u32 s3, 0
	s_cselect_b32 s3, s12, -1
	s_delay_alu instid0(SALU_CYCLE_1) | instskip(SKIP_2) | instid1(SALU_CYCLE_1)
	s_cmp_lg_u32 s3, 0
	s_cselect_b32 s3, s11, s10
	s_cselect_b32 s2, s2, s7
	s_xor_b64 s[2:3], s[2:3], s[8:9]
	s_delay_alu instid0(SALU_CYCLE_1)
	s_sub_u32 s2, s2, s8
	s_subb_u32 s3, s3, s8
	s_cbranch_execnz .LBB9_5
.LBB9_4:
	v_cvt_f32_u32_e32 v1, s25
	s_sub_i32 s3, 0, s25
	s_delay_alu instid0(VALU_DEP_1) | instskip(SKIP_2) | instid1(VALU_DEP_1)
	v_rcp_iflag_f32_e32 v1, v1
	s_waitcnt_depctr 0xfff
	v_mul_f32_e32 v1, 0x4f7ffffe, v1
	v_cvt_u32_f32_e32 v1, v1
	s_delay_alu instid0(VALU_DEP_1) | instskip(NEXT) | instid1(VALU_DEP_1)
	v_readfirstlane_b32 s2, v1
	s_mul_i32 s3, s3, s2
	s_delay_alu instid0(SALU_CYCLE_1) | instskip(NEXT) | instid1(SALU_CYCLE_1)
	s_mul_hi_u32 s3, s2, s3
	s_add_i32 s2, s2, s3
	s_delay_alu instid0(SALU_CYCLE_1) | instskip(NEXT) | instid1(SALU_CYCLE_1)
	s_mul_hi_u32 s2, s6, s2
	s_mul_i32 s3, s2, s25
	s_delay_alu instid0(SALU_CYCLE_1)
	s_sub_i32 s3, s6, s3
	s_add_i32 s6, s2, 1
	s_sub_i32 s7, s3, s25
	s_cmp_ge_u32 s3, s25
	s_cselect_b32 s2, s6, s2
	s_cselect_b32 s3, s7, s3
	s_add_i32 s6, s2, 1
	s_cmp_ge_u32 s3, s25
	s_mov_b32 s3, 0
	s_cselect_b32 s2, s6, s2
.LBB9_5:
	v_mov_b32_e32 v1, 0
	s_add_u32 s2, s2, 1
	s_addc_u32 s3, s3, 0
	s_mul_hi_u32 s6, s24, s2
	s_mul_i32 s3, s24, s3
	v_mad_u64_u32 v[10:11], null, s5, s15, v[0:1]
	s_mul_hi_u32 s4, s4, s5
	s_add_i32 s3, s6, s3
	s_mul_i32 s4, s4, s2
	s_mul_i32 s2, s24, s2
	s_add_i32 s3, s3, s4
	s_mov_b32 s4, exec_lo
	s_lshl_b64 s[2:3], s[2:3], 2
	s_delay_alu instid0(SALU_CYCLE_1)
	v_cmpx_gt_i64_e64 s[2:3], v[10:11]
	s_cbranch_execz .LBB9_78
; %bb.6:
	s_load_b128 s[12:15], s[0:1], 0x138
	s_mov_b32 s4, 0x3e9b6dac
	v_alignbit_b32 v22, v3, v2, 2
	v_lshrrev_b32_e32 v23, 2, v3
	v_log_f32_e32 v34, s0
	s_waitcnt vmcnt(0)
	v_add_co_u32 v21, null, 0x9e3779b9, v8
	v_add_co_u32 v24, null, 0x3c6ef372, v8
	;; [unrolled: 1-line block ×7, first 2 shown]
	s_add_u32 s18, s0, 48
	s_waitcnt lgkmcnt(0)
	v_cvt_f32_f64_e32 v7, s[14:15]
	s_load_b64 s[14:15], s[0:1], 0xf4
	s_addc_u32 s19, s1, 0
	s_mov_b32 s26, 0
	s_mul_i32 s33, s24, 3
	s_delay_alu instid0(VALU_DEP_1) | instskip(NEXT) | instid1(VALU_DEP_1)
	v_sub_f32_e32 v4, 1.0, v7
	v_cvt_f64_f32_e32 v[0:1], v4
	s_delay_alu instid0(VALU_DEP_1) | instskip(SKIP_1) | instid1(VALU_DEP_1)
	v_frexp_exp_i32_f64_e32 v0, v[0:1]
	v_frexp_mant_f32_e32 v1, v4
	v_cmp_gt_f32_e32 vcc_lo, 0x3f2aaaab, v1
	v_add_f32_e32 v1, -1.0, v4
	s_delay_alu instid0(VALU_DEP_1) | instskip(NEXT) | instid1(VALU_DEP_1)
	v_sub_f32_e32 v6, v1, v4
	v_add_f32_e32 v6, 1.0, v6
	v_sub_f32_e64 v1, -v7, v1
	s_delay_alu instid0(VALU_DEP_1) | instskip(SKIP_2) | instid1(VALU_DEP_2)
	v_add_f32_e32 v1, v1, v6
	v_subrev_co_ci_u32_e32 v0, vcc_lo, 0, v0, vcc_lo
	v_cmp_eq_f32_e32 vcc_lo, 0xff800000, v7
	v_sub_nc_u32_e32 v5, 0, v0
	s_delay_alu instid0(VALU_DEP_1) | instskip(SKIP_1) | instid1(VALU_DEP_2)
	v_ldexp_f32 v4, v4, v5
	v_ldexp_f32 v1, v1, v5
	v_add_f32_e32 v5, -1.0, v4
	v_add_f32_e32 v12, 1.0, v4
	s_delay_alu instid0(VALU_DEP_1) | instskip(NEXT) | instid1(VALU_DEP_1)
	v_add_f32_e32 v6, -1.0, v12
	v_dual_sub_f32 v6, v4, v6 :: v_dual_add_f32 v13, 1.0, v5
	s_delay_alu instid0(VALU_DEP_1) | instskip(NEXT) | instid1(VALU_DEP_2)
	v_add_f32_e32 v6, v1, v6
	v_sub_f32_e32 v4, v4, v13
	s_delay_alu instid0(VALU_DEP_1) | instskip(NEXT) | instid1(VALU_DEP_1)
	v_add_f32_e32 v1, v1, v4
	v_add_f32_e32 v14, v5, v1
	s_delay_alu instid0(VALU_DEP_1) | instskip(SKIP_1) | instid1(VALU_DEP_1)
	v_sub_f32_e32 v5, v14, v5
	v_add_f32_e32 v13, v12, v6
	v_rcp_f32_e32 v4, v13
	v_sub_f32_e32 v12, v13, v12
	s_waitcnt_depctr 0xfff
	v_mul_f32_e32 v15, v14, v4
	v_sub_f32_e32 v6, v6, v12
	s_delay_alu instid0(VALU_DEP_2) | instskip(NEXT) | instid1(VALU_DEP_1)
	v_mul_f32_e32 v16, v13, v15
	v_fma_f32 v12, v15, v13, -v16
	s_delay_alu instid0(VALU_DEP_1) | instskip(NEXT) | instid1(VALU_DEP_1)
	v_dual_fmac_f32 v12, v15, v6 :: v_dual_sub_f32 v1, v1, v5
	v_add_f32_e32 v17, v16, v12
	s_delay_alu instid0(VALU_DEP_1) | instskip(NEXT) | instid1(VALU_DEP_1)
	v_dual_sub_f32 v5, v17, v16 :: v_dual_sub_f32 v18, v14, v17
	v_dual_sub_f32 v5, v5, v12 :: v_dual_sub_f32 v14, v14, v18
	s_delay_alu instid0(VALU_DEP_1) | instskip(NEXT) | instid1(VALU_DEP_1)
	v_sub_f32_e32 v14, v14, v17
	v_add_f32_e32 v1, v1, v14
	s_delay_alu instid0(VALU_DEP_1) | instskip(NEXT) | instid1(VALU_DEP_1)
	v_add_f32_e32 v1, v5, v1
	v_add_f32_e32 v5, v18, v1
	s_delay_alu instid0(VALU_DEP_1) | instskip(SKIP_2) | instid1(VALU_DEP_3)
	v_mul_f32_e32 v12, v4, v5
	v_sub_f32_e32 v17, v18, v5
	v_add_co_u32 v18, null, 0x5384540f, v8
	v_mul_f32_e32 v14, v13, v12
	s_delay_alu instid0(VALU_DEP_1) | instskip(NEXT) | instid1(VALU_DEP_1)
	v_fma_f32 v13, v12, v13, -v14
	v_fmac_f32_e32 v13, v12, v6
	s_delay_alu instid0(VALU_DEP_1) | instskip(SKIP_1) | instid1(VALU_DEP_2)
	v_add_f32_e32 v6, v14, v13
	v_add_f32_e32 v1, v1, v17
	v_sub_f32_e32 v16, v5, v6
	s_delay_alu instid0(VALU_DEP_1) | instskip(NEXT) | instid1(VALU_DEP_1)
	v_sub_f32_e32 v5, v5, v16
	v_sub_f32_e32 v5, v5, v6
	s_delay_alu instid0(VALU_DEP_1) | instskip(SKIP_1) | instid1(VALU_DEP_1)
	v_add_f32_e32 v1, v1, v5
	v_dual_add_f32 v5, v15, v12 :: v_dual_sub_f32 v14, v6, v14
	v_sub_f32_e32 v6, v14, v13
	s_delay_alu instid0(VALU_DEP_1) | instskip(NEXT) | instid1(VALU_DEP_3)
	v_dual_mov_b32 v14, v9 :: v_dual_add_f32 v1, v6, v1
	v_sub_f32_e32 v6, v5, v15
	s_delay_alu instid0(VALU_DEP_2) | instskip(SKIP_1) | instid1(VALU_DEP_4)
	v_add_co_u32 v37, null, 0xdb3d7428, v14
	v_and_b32_e32 v15, 3, v2
	v_add_f32_e32 v1, v16, v1
	s_delay_alu instid0(VALU_DEP_4) | instskip(NEXT) | instid1(VALU_DEP_2)
	v_sub_f32_e32 v6, v12, v6
	v_mul_f32_e32 v1, v4, v1
	s_delay_alu instid0(VALU_DEP_1) | instskip(NEXT) | instid1(VALU_DEP_1)
	v_add_f32_e32 v1, v6, v1
	v_add_f32_e32 v4, v5, v1
	s_delay_alu instid0(VALU_DEP_1) | instskip(NEXT) | instid1(VALU_DEP_1)
	v_mul_f32_e32 v6, v4, v4
	v_dual_mul_f32 v13, v4, v6 :: v_dual_add_nc_u32 v16, 0x8ff34781, v8
	v_fmaak_f32 v12, s4, v6, 0x3ecc95a3
	s_load_b256 s[4:11], s[0:1], 0x30
	s_waitcnt lgkmcnt(0)
	v_cmp_gt_f32_e64 s11, 0x33800000, |v7|
	s_delay_alu instid0(VALU_DEP_2) | instskip(SKIP_2) | instid1(VALU_DEP_3)
	v_fmaak_f32 v6, v6, v12, 0x3f2aaada
	v_add_nc_u32_e32 v17, 0x96a522ad, v9
	v_ldexp_f32 v12, v4, 1
	v_mul_f32_e32 v6, v13, v6
	v_cvt_f32_i32_e32 v13, v0
	v_sub_f32_e32 v0, v4, v5
	s_delay_alu instid0(VALU_DEP_2) | instskip(NEXT) | instid1(VALU_DEP_1)
	v_dual_add_f32 v5, v12, v6 :: v_dual_mul_f32 v28, 0x3f317218, v13
	v_sub_f32_e32 v4, v5, v12
	s_delay_alu instid0(VALU_DEP_2) | instskip(SKIP_1) | instid1(SALU_CYCLE_1)
	v_fma_f32 v3, 0x3f317218, v13, -v28
	s_add_i32 s20, s4, -1
	s_cmp_gt_u32 s20, 1
	s_delay_alu instid0(VALU_DEP_2) | instskip(NEXT) | instid1(VALU_DEP_2)
	v_sub_f32_e32 v4, v6, v4
	v_fmamk_f32 v6, v13, 0xb102e308, v3
	v_sub_f32_e32 v2, v1, v0
	v_mad_u64_u32 v[0:1], null, 0xcd9e8d57, v10, 0
	s_delay_alu instid0(VALU_DEP_3) | instskip(NEXT) | instid1(VALU_DEP_3)
	v_add_f32_e32 v13, v28, v6
	v_ldexp_f32 v2, v2, 1
	s_delay_alu instid0(VALU_DEP_3) | instskip(NEXT) | instid1(VALU_DEP_2)
	v_xor3_b32 v1, v8, v1, v23
	v_add_f32_e32 v12, v2, v4
	v_mad_u64_u32 v[2:3], null, 0xd2511f53, v22, 0
	v_sub_f32_e32 v32, v13, v28
	v_add_co_u32 v28, null, 0xbb67ae85, v14
	s_delay_alu instid0(VALU_DEP_4) | instskip(NEXT) | instid1(VALU_DEP_4)
	v_add_f32_e32 v29, v5, v12
	v_xor_b32_e32 v30, v3, v9
	v_mad_u64_u32 v[3:4], null, 0xd2511f53, v1, 0
	s_delay_alu instid0(VALU_DEP_3) | instskip(SKIP_1) | instid1(VALU_DEP_4)
	v_add_f32_e32 v31, v13, v29
	v_sub_f32_e32 v5, v29, v5
	v_xor_b32_e32 v30, v30, v11
	s_delay_alu instid0(VALU_DEP_3) | instskip(NEXT) | instid1(VALU_DEP_3)
	v_sub_f32_e32 v1, v31, v13
	v_sub_f32_e32 v12, v12, v5
	s_delay_alu instid0(VALU_DEP_2) | instskip(SKIP_3) | instid1(VALU_DEP_4)
	v_sub_f32_e32 v33, v31, v1
	v_sub_f32_e32 v5, v29, v1
	v_xor3_b32 v29, v28, v4, v2
	v_mad_u64_u32 v[1:2], null, 0xcd9e8d57, v30, 0
	v_sub_f32_e32 v13, v13, v33
	v_add_co_u32 v30, null, 0x76cf5d0a, v14
	s_delay_alu instid0(VALU_DEP_2) | instskip(SKIP_4) | instid1(VALU_DEP_2)
	v_add_f32_e32 v13, v5, v13
	v_mad_u64_u32 v[4:5], null, 0xcd9e8d57, v29, 0
	v_mov_b32_e32 v29, v10
	v_sub_f32_e32 v6, v6, v32
	v_xor3_b32 v2, v21, v2, v0
	v_add_f32_e32 v32, v6, v12
	v_xor3_b32 v35, v24, v5, v1
	s_delay_alu instid0(VALU_DEP_3) | instskip(NEXT) | instid1(VALU_DEP_3)
	v_mad_u64_u32 v[0:1], null, 0xd2511f53, v2, 0
	v_add_f32_e32 v13, v32, v13
	s_delay_alu instid0(VALU_DEP_1) | instskip(NEXT) | instid1(VALU_DEP_1)
	v_dual_sub_f32 v33, v32, v6 :: v_dual_add_f32 v36, v31, v13
	v_sub_f32_e32 v2, v12, v33
	v_sub_f32_e32 v5, v32, v33
	v_xor3_b32 v3, v30, v1, v3
	v_add_co_u32 v33, null, 0xa9066899, v14
	v_sub_f32_e32 v32, v36, v31
	s_delay_alu instid0(VALU_DEP_4) | instskip(SKIP_2) | instid1(VALU_DEP_3)
	v_sub_f32_e32 v12, v6, v5
	v_mad_u64_u32 v[5:6], null, 0xd2511f53, v35, 0
	v_add_co_u32 v31, null, 0x32370b8f, v14
	v_add_f32_e32 v2, v2, v12
	v_dual_sub_f32 v12, v13, v32 :: v_dual_mul_f32 v13, 0x3f317217, v34
	v_add_co_u32 v32, null, 0xed9eba14, v14
	s_delay_alu instid0(VALU_DEP_4) | instskip(NEXT) | instid1(VALU_DEP_3)
	v_xor3_b32 v6, v31, v6, v0
	v_add_f32_e32 v12, v2, v12
	v_mad_u64_u32 v[0:1], null, 0xcd9e8d57, v3, 0
	v_fma_f32 v35, 0x3f317217, v34, -v13
	s_delay_alu instid0(VALU_DEP_4) | instskip(NEXT) | instid1(VALU_DEP_4)
	v_mad_u64_u32 v[2:3], null, 0xcd9e8d57, v6, 0
	v_add_f32_e32 v6, v36, v12
	v_add_co_u32 v36, null, 0x1fd5c5a3, v14
	v_xor3_b32 v4, v20, v1, v4
	v_fmac_f32_e32 v35, 0x3377d1cf, v34
	s_delay_alu instid0(VALU_DEP_4) | instskip(SKIP_3) | instid1(VALU_DEP_4)
	v_cndmask_b32_e64 v6, v6, -v7, vcc_lo
	v_cmp_nlt_f32_e32 vcc_lo, 1.0, v7
	v_xor3_b32 v12, v25, v3, v0
	v_mad_u64_u32 v[0:1], null, 0xd2511f53, v4, 0
	v_dual_add_f32 v13, v13, v35 :: v_dual_cndmask_b32 v6, 0x7fc00000, v6
	v_cmp_neq_f32_e32 vcc_lo, 1.0, v7
	s_delay_alu instid0(VALU_DEP_4) | instskip(SKIP_1) | instid1(VALU_DEP_4)
	v_mad_u64_u32 v[3:4], null, 0xd2511f53, v12, 0
	v_add_co_u32 v35, null, 0x646e171e, v14
	v_cndmask_b32_e32 v6, 0xff800000, v6, vcc_lo
	v_cmp_gt_f32_e64 vcc_lo, 0x7f800000, |v34|
	v_xor3_b32 v1, v32, v1, v5
	v_xor3_b32 v4, v33, v4, v0
	v_cndmask_b32_e32 v40, v34, v13, vcc_lo
	v_cndmask_b32_e64 v34, v6, -v7, s11
	s_delay_alu instid0(VALU_DEP_4) | instskip(NEXT) | instid1(VALU_DEP_4)
	v_mad_u64_u32 v[5:6], null, 0xcd9e8d57, v1, 0
	v_mad_u64_u32 v[0:1], null, 0xcd9e8d57, v4, 0
	s_delay_alu instid0(VALU_DEP_3) | instskip(SKIP_1) | instid1(VALU_DEP_4)
	v_div_scale_f32 v41, null, v34, v34, v40
	v_div_scale_f32 v43, vcc_lo, v40, v34, v40
	v_xor3_b32 v2, v19, v6, v2
	s_delay_alu instid0(VALU_DEP_3) | instskip(NEXT) | instid1(VALU_DEP_4)
	v_rcp_f32_e32 v42, v41
	v_xor3_b32 v4, v26, v1, v5
	s_cselect_b32 s11, -1, 0
	s_cmp_lg_u32 s4, 0
	v_mad_u64_u32 v[6:7], null, 0xd2511f53, v2, 0
	s_delay_alu instid0(VALU_DEP_2)
	v_mad_u64_u32 v[1:2], null, 0xd2511f53, v4, 0
	s_cselect_b32 s27, -1, 0
	s_add_u32 s0, s0, 0xf4
	s_waitcnt_depctr 0xfff
	v_fma_f32 v5, -v41, v42, 1.0
	s_addc_u32 s1, s1, 0
	v_xor3_b32 v7, v35, v7, v3
	s_min_u32 s21, s20, 15
	v_xor3_b32 v2, v36, v2, v6
	v_fmac_f32_e32 v42, v5, v42
	s_cmp_gt_u32 s4, 1
	v_mad_u64_u32 v[3:4], null, 0xcd9e8d57, v7, 0
	s_delay_alu instid0(VALU_DEP_3) | instskip(NEXT) | instid1(VALU_DEP_3)
	v_mad_u64_u32 v[12:13], null, 0xcd9e8d57, v2, 0
	v_mul_f32_e32 v5, v43, v42
	s_cselect_b32 s4, -1, 0
	s_add_i32 s21, s21, 1
	s_lshl_b32 s28, s24, 1
	s_delay_alu instid0(VALU_DEP_3) | instskip(SKIP_1) | instid1(VALU_DEP_4)
	v_xor3_b32 v0, v18, v4, v0
	v_fma_f32 v4, -v41, v5, v43
	v_xor3_b32 v2, v27, v13, v3
	s_and_b32 s29, s21, 3
	s_cmp_lg_u32 s20, 2
	v_mad_u64_u32 v[38:39], null, 0xd2511f53, v0, 0
	v_fmac_f32_e32 v5, v4, v42
	s_cselect_b32 s30, -1, 0
	s_and_b32 s31, s21, 28
	s_cmp_lg_u32 s29, 0
	s_delay_alu instid0(VALU_DEP_1) | instskip(NEXT) | instid1(VALU_DEP_3)
	v_fma_f32 v0, -v41, v5, v43
	v_xor3_b32 v3, v37, v39, v1
	v_mov_b32_e32 v39, v11
	s_cselect_b32 s34, -1, 0
	s_delay_alu instid0(VALU_DEP_3) | instskip(SKIP_2) | instid1(VALU_DEP_3)
	v_div_fmas_f32 v6, v0, v42, v5
	v_mad_u64_u32 v[0:1], null, 0xd2511f53, v2, 0
	v_mad_u64_u32 v[4:5], null, 0xcd9e8d57, v3, 0
	v_div_fixup_f32 v2, v6, v34, v40
	s_delay_alu instid0(VALU_DEP_3) | instskip(NEXT) | instid1(VALU_DEP_2)
	v_mov_b32_e32 v6, v0
	v_ceil_f32_e32 v2, v2
	s_delay_alu instid0(VALU_DEP_4) | instskip(SKIP_1) | instid1(VALU_DEP_3)
	v_xor3_b32 v3, v5, v12, v16
	v_xor3_b32 v5, v1, v38, v17
	v_cvt_i32_f32_e32 v38, v2
	s_branch .LBB9_9
.LBB9_7:                                ;   in Loop: Header=BB9_9 Depth=1
	global_store_b32 v4, v38, s[12:13]
.LBB9_8:                                ;   in Loop: Header=BB9_9 Depth=1
	s_or_b32 exec_lo, exec_lo, s35
	v_add_co_u32 v10, vcc_lo, v10, s25
	v_add_co_ci_u32_e32 v11, vcc_lo, 0, v11, vcc_lo
	v_mov_b32_e32 v3, v12
	s_waitcnt_vscnt null, 0x0
	s_barrier
	s_delay_alu instid0(VALU_DEP_2)
	v_cmp_le_i64_e32 vcc_lo, s[2:3], v[10:11]
	buffer_gl0_inv
	v_mov_b32_e32 v6, v3
	v_dual_mov_b32 v5, v2 :: v_dual_mov_b32 v4, v1
	v_mov_b32_e32 v3, v0
	s_or_b32 s26, vcc_lo, s26
	s_delay_alu instid0(SALU_CYCLE_1)
	s_and_not1_b32 exec_lo, exec_lo, s26
	s_cbranch_execz .LBB9_78
.LBB9_9:                                ; =>This Loop Header: Depth=1
                                        ;     Child Loop BB9_24 Depth 2
                                        ;     Child Loop BB9_29 Depth 2
	;; [unrolled: 1-line block ×8, first 2 shown]
	v_add_co_u32 v22, vcc_lo, v22, 1
	s_delay_alu instid0(VALU_DEP_1) | instskip(SKIP_2) | instid1(VALU_DEP_1)
	v_cndmask_b32_e64 v0, 0, 1, vcc_lo
	v_add_co_ci_u32_e32 v23, vcc_lo, 0, v23, vcc_lo
	s_mov_b32 s20, exec_lo
	v_cmp_eq_u32_e32 vcc_lo, 0, v23
	s_delay_alu instid0(VALU_DEP_3) | instskip(NEXT) | instid1(VALU_DEP_1)
	v_cndmask_b32_e32 v0, 0, v0, vcc_lo
	v_add_nc_u32_e32 v29, v0, v29
	s_delay_alu instid0(VALU_DEP_1) | instskip(SKIP_2) | instid1(VALU_DEP_2)
	v_cmp_eq_u32_e32 vcc_lo, 0, v29
	v_cndmask_b32_e32 v0, 0, v0, vcc_lo
	v_mad_u64_u32 v[12:13], null, 0xcd9e8d57, v29, 0
	v_add_nc_u32_e32 v39, v0, v39
	v_mad_u64_u32 v[0:1], null, 0xd2511f53, v22, 0
	s_delay_alu instid0(VALU_DEP_3) | instskip(NEXT) | instid1(VALU_DEP_2)
	v_xor3_b32 v7, v13, v8, v23
	v_xor_b32_e32 v1, v1, v9
	s_delay_alu instid0(VALU_DEP_1) | instskip(NEXT) | instid1(VALU_DEP_3)
	v_xor_b32_e32 v40, v39, v1
	v_mad_u64_u32 v[1:2], null, 0xd2511f53, v7, 0
	s_delay_alu instid0(VALU_DEP_2) | instskip(NEXT) | instid1(VALU_DEP_2)
	v_mad_u64_u32 v[13:14], null, 0xcd9e8d57, v40, 0
	v_xor3_b32 v0, v28, v2, v0
	s_delay_alu instid0(VALU_DEP_2) | instskip(NEXT) | instid1(VALU_DEP_2)
	v_xor3_b32 v2, v21, v14, v12
	v_mad_u64_u32 v[40:41], null, 0xcd9e8d57, v0, 0
	s_delay_alu instid0(VALU_DEP_2) | instskip(NEXT) | instid1(VALU_DEP_2)
	v_mad_u64_u32 v[42:43], null, 0xd2511f53, v2, 0
	v_xor3_b32 v2, v24, v41, v13
	s_delay_alu instid0(VALU_DEP_2) | instskip(NEXT) | instid1(VALU_DEP_2)
	v_xor3_b32 v7, v30, v43, v1
	;; [unrolled: 6-line block ×9, first 2 shown]
	v_mov_b32_e32 v2, v7
	v_cmpx_lt_i32_e32 1, v15
	s_xor_b32 s20, exec_lo, s20
	s_cbranch_execnz .LBB9_12
; %bb.10:                               ;   in Loop: Header=BB9_9 Depth=1
	s_and_not1_saveexec_b32 s20, s20
	s_cbranch_execnz .LBB9_17
.LBB9_11:                               ;   in Loop: Header=BB9_9 Depth=1
	s_or_b32 exec_lo, exec_lo, s20
	s_delay_alu instid0(SALU_CYCLE_1)
	s_mov_b32 s35, exec_lo
	v_cmpx_gt_i64_e64 s[16:17], v[10:11]
	s_cbranch_execnz .LBB9_20
	s_branch .LBB9_34
.LBB9_12:                               ;   in Loop: Header=BB9_9 Depth=1
	s_mov_b32 s21, exec_lo
	v_cmpx_lt_i32_e32 2, v15
	s_xor_b32 s21, exec_lo, s21
; %bb.13:                               ;   in Loop: Header=BB9_9 Depth=1
	v_dual_mov_b32 v4, v6 :: v_dual_mov_b32 v5, v0
	v_mov_b32_e32 v6, v1
	s_delay_alu instid0(VALU_DEP_2) | instskip(NEXT) | instid1(VALU_DEP_3)
	v_mov_b32_e32 v3, v4
	v_mov_b32_e32 v4, v5
	s_delay_alu instid0(VALU_DEP_3)
	v_mov_b32_e32 v5, v6
	v_mov_b32_e32 v6, v7
; %bb.14:                               ;   in Loop: Header=BB9_9 Depth=1
	s_and_not1_saveexec_b32 s21, s21
; %bb.15:                               ;   in Loop: Header=BB9_9 Depth=1
	s_delay_alu instid0(VALU_DEP_1)
	v_dual_mov_b32 v3, v5 :: v_dual_mov_b32 v4, v6
	v_dual_mov_b32 v5, v0 :: v_dual_mov_b32 v6, v1
; %bb.16:                               ;   in Loop: Header=BB9_9 Depth=1
	s_or_b32 exec_lo, exec_lo, s21
	s_and_not1_saveexec_b32 s20, s20
	s_cbranch_execz .LBB9_11
.LBB9_17:                               ;   in Loop: Header=BB9_9 Depth=1
	s_mov_b32 s21, exec_lo
	v_cmpx_eq_u32_e32 1, v15
; %bb.18:                               ;   in Loop: Header=BB9_9 Depth=1
	v_dual_mov_b32 v3, v4 :: v_dual_mov_b32 v4, v5
	v_dual_mov_b32 v5, v6 :: v_dual_mov_b32 v6, v0
; %bb.19:                               ;   in Loop: Header=BB9_9 Depth=1
	s_or_b32 exec_lo, exec_lo, s21
	s_delay_alu instid0(SALU_CYCLE_1) | instskip(NEXT) | instid1(SALU_CYCLE_1)
	s_or_b32 exec_lo, exec_lo, s20
	s_mov_b32 s35, exec_lo
	v_cmpx_gt_i64_e64 s[16:17], v[10:11]
	s_cbranch_execz .LBB9_34
.LBB9_20:                               ;   in Loop: Header=BB9_9 Depth=1
	s_and_not1_b32 vcc_lo, exec_lo, s11
	s_cbranch_vccnz .LBB9_26
; %bb.21:                               ;   in Loop: Header=BB9_9 Depth=1
	v_mov_b32_e32 v7, 0
	s_and_not1_b32 vcc_lo, exec_lo, s27
	s_cbranch_vccnz .LBB9_30
; %bb.22:                               ;   in Loop: Header=BB9_9 Depth=1
	s_and_not1_b32 vcc_lo, exec_lo, s30
	s_mov_b32 s20, 0
	s_cbranch_vccnz .LBB9_27
; %bb.23:                               ;   in Loop: Header=BB9_9 Depth=1
	v_mov_b32_e32 v7, 0
	v_mov_b32_e32 v13, v10
	s_mov_b32 s36, 0
	s_mov_b64 s[20:21], s[18:19]
	s_mov_b64 s[22:23], s[0:1]
.LBB9_24:                               ;   Parent Loop BB9_9 Depth=1
                                        ; =>  This Inner Loop Header: Depth=2
	s_clause 0x1
	s_load_b256 s[40:47], s[20:21], 0x4
	s_load_b128 s[48:51], s[20:21], 0x24
	s_load_b128 s[52:55], s[22:23], 0x0
	s_add_u32 s20, s20, 48
	s_addc_u32 s21, s21, 0
	s_add_i32 s36, s36, 4
	s_add_u32 s22, s22, 16
	s_addc_u32 s23, s23, 0
	s_cmp_lg_u32 s31, s36
	s_waitcnt lgkmcnt(0)
	v_mul_hi_u32 v14, s41, v13
	s_delay_alu instid0(VALU_DEP_1) | instskip(NEXT) | instid1(VALU_DEP_1)
	v_add_nc_u32_e32 v14, v13, v14
	v_lshrrev_b32_e32 v14, s42, v14
	s_delay_alu instid0(VALU_DEP_1) | instskip(SKIP_1) | instid1(VALU_DEP_2)
	v_mul_hi_u32 v40, s44, v14
	v_mul_lo_u32 v43, v14, s40
	v_add_nc_u32_e32 v40, v14, v40
	s_delay_alu instid0(VALU_DEP_2) | instskip(NEXT) | instid1(VALU_DEP_2)
	v_sub_nc_u32_e32 v43, v13, v43
	v_lshrrev_b32_e32 v40, s45, v40
	s_delay_alu instid0(VALU_DEP_2) | instskip(NEXT) | instid1(VALU_DEP_2)
	v_mul_lo_u32 v43, v43, s52
	v_mul_hi_u32 v41, s47, v40
	v_mul_lo_u32 v44, v40, s43
	s_delay_alu instid0(VALU_DEP_2) | instskip(NEXT) | instid1(VALU_DEP_2)
	v_add_nc_u32_e32 v41, v40, v41
	v_sub_nc_u32_e32 v14, v14, v44
	s_delay_alu instid0(VALU_DEP_2) | instskip(NEXT) | instid1(VALU_DEP_2)
	v_lshrrev_b32_e32 v41, s48, v41
	v_mul_lo_u32 v14, v14, s53
	s_delay_alu instid0(VALU_DEP_2) | instskip(NEXT) | instid1(VALU_DEP_2)
	v_mul_hi_u32 v42, s50, v41
	v_add3_u32 v7, v43, v7, v14
	s_delay_alu instid0(VALU_DEP_2) | instskip(NEXT) | instid1(VALU_DEP_1)
	v_add_nc_u32_e32 v42, v41, v42
	v_lshrrev_b32_e32 v13, s51, v42
	v_mul_lo_u32 v42, v41, s46
	s_delay_alu instid0(VALU_DEP_2) | instskip(NEXT) | instid1(VALU_DEP_2)
	v_mul_lo_u32 v45, v13, s49
	v_sub_nc_u32_e32 v40, v40, v42
	s_delay_alu instid0(VALU_DEP_2) | instskip(NEXT) | instid1(VALU_DEP_2)
	v_sub_nc_u32_e32 v41, v41, v45
	v_mul_lo_u32 v40, v40, s54
	s_delay_alu instid0(VALU_DEP_2) | instskip(NEXT) | instid1(VALU_DEP_1)
	v_mul_lo_u32 v41, v41, s55
	v_add3_u32 v7, v40, v7, v41
	s_cbranch_scc1 .LBB9_24
; %bb.25:                               ;   in Loop: Header=BB9_9 Depth=1
	s_mov_b32 s20, s31
	s_and_not1_b32 vcc_lo, exec_lo, s34
	s_cbranch_vccz .LBB9_28
	s_branch .LBB9_30
.LBB9_26:                               ;   in Loop: Header=BB9_9 Depth=1
                                        ; implicit-def: $vgpr7
	s_branch .LBB9_31
.LBB9_27:                               ;   in Loop: Header=BB9_9 Depth=1
	v_mov_b32_e32 v13, v10
	s_and_not1_b32 vcc_lo, exec_lo, s34
	s_cbranch_vccnz .LBB9_30
.LBB9_28:                               ;   in Loop: Header=BB9_9 Depth=1
	s_lshl_b32 s21, s20, 2
	s_mul_i32 s22, s20, 12
	s_add_u32 s20, s0, s21
	s_addc_u32 s21, s1, 0
	s_add_u32 s22, s18, s22
	s_addc_u32 s23, s19, 0
	s_mov_b32 s36, s29
	.p2align	6
.LBB9_29:                               ;   Parent Loop BB9_9 Depth=1
                                        ; =>  This Inner Loop Header: Depth=2
	s_clause 0x1
	s_load_b64 s[38:39], s[22:23], 0x4
	s_load_b32 s37, s[22:23], 0xc
	s_add_u32 s22, s22, 12
	s_addc_u32 s23, s23, 0
	s_waitcnt lgkmcnt(0)
	v_mul_hi_u32 v14, s39, v13
	s_load_b32 s39, s[20:21], 0x0
	s_add_u32 s20, s20, 4
	s_addc_u32 s21, s21, 0
	s_add_i32 s36, s36, -1
	s_delay_alu instid0(SALU_CYCLE_1) | instskip(NEXT) | instid1(VALU_DEP_1)
	s_cmp_lg_u32 s36, 0
	v_add_nc_u32_e32 v14, v13, v14
	s_delay_alu instid0(VALU_DEP_1) | instskip(NEXT) | instid1(VALU_DEP_1)
	v_lshrrev_b32_e32 v14, s37, v14
	v_mul_lo_u32 v40, v14, s38
	s_delay_alu instid0(VALU_DEP_1) | instskip(SKIP_1) | instid1(VALU_DEP_1)
	v_sub_nc_u32_e32 v13, v13, v40
	s_waitcnt lgkmcnt(0)
	v_mad_u64_u32 v[40:41], null, v13, s39, v[7:8]
	v_mov_b32_e32 v13, v14
	s_delay_alu instid0(VALU_DEP_2)
	v_mov_b32_e32 v7, v40
	s_cbranch_scc1 .LBB9_29
.LBB9_30:                               ;   in Loop: Header=BB9_9 Depth=1
	s_cbranch_execnz .LBB9_33
.LBB9_31:                               ;   in Loop: Header=BB9_9 Depth=1
	v_mul_hi_u32 v7, v10, s6
	s_and_not1_b32 vcc_lo, exec_lo, s4
	s_delay_alu instid0(VALU_DEP_1) | instskip(NEXT) | instid1(VALU_DEP_1)
	v_add_nc_u32_e32 v7, v7, v10
	v_lshrrev_b32_e32 v13, s7, v7
	s_delay_alu instid0(VALU_DEP_1) | instskip(NEXT) | instid1(VALU_DEP_1)
	v_mul_lo_u32 v7, v13, s5
	v_sub_nc_u32_e32 v7, v10, v7
	s_delay_alu instid0(VALU_DEP_1)
	v_mul_lo_u32 v7, v7, s14
	s_cbranch_vccnz .LBB9_33
; %bb.32:                               ;   in Loop: Header=BB9_9 Depth=1
	v_mul_hi_u32 v14, s9, v13
	s_delay_alu instid0(VALU_DEP_1) | instskip(NEXT) | instid1(VALU_DEP_1)
	v_add_nc_u32_e32 v14, v13, v14
	v_lshrrev_b32_e32 v14, s10, v14
	s_delay_alu instid0(VALU_DEP_1) | instskip(NEXT) | instid1(VALU_DEP_1)
	v_mul_lo_u32 v14, v14, s8
	v_sub_nc_u32_e32 v40, v13, v14
	s_delay_alu instid0(VALU_DEP_1) | instskip(NEXT) | instid1(VALU_DEP_1)
	v_mad_u64_u32 v[13:14], null, v40, s15, v[7:8]
	v_mov_b32_e32 v7, v13
.LBB9_33:                               ;   in Loop: Header=BB9_9 Depth=1
	v_lshrrev_b32_e32 v4, 11, v4
	s_delay_alu instid0(VALU_DEP_1) | instskip(SKIP_1) | instid1(VALU_DEP_2)
	v_cvt_f64_u32_e32 v[13:14], v4
	v_cvt_f64_u32_e32 v[3:4], v3
	v_ldexp_f64 v[13:14], v[13:14], 32
	s_delay_alu instid0(VALU_DEP_1) | instskip(NEXT) | instid1(VALU_DEP_1)
	v_add_f64 v[3:4], v[13:14], v[3:4]
	v_fma_f64 v[3:4], 0x3ca00000, v[3:4], 0x3ca00000
	s_delay_alu instid0(VALU_DEP_1) | instskip(NEXT) | instid1(VALU_DEP_1)
	v_cvt_f32_f64_e32 v3, v[3:4]
	v_cmp_gt_f32_e32 vcc_lo, 0x800000, v3
	v_cndmask_b32_e64 v4, 1.0, 0x4f800000, vcc_lo
	s_delay_alu instid0(VALU_DEP_1) | instskip(NEXT) | instid1(VALU_DEP_1)
	v_mul_f32_e32 v3, v3, v4
	v_log_f32_e32 v3, v3
	s_waitcnt_depctr 0xfff
	v_mul_f32_e32 v4, 0x3f317217, v3
	s_delay_alu instid0(VALU_DEP_1) | instskip(NEXT) | instid1(VALU_DEP_1)
	v_fma_f32 v13, 0x3f317217, v3, -v4
	v_fmac_f32_e32 v13, 0x3377d1cf, v3
	s_delay_alu instid0(VALU_DEP_1) | instskip(SKIP_2) | instid1(VALU_DEP_3)
	v_add_f32_e32 v4, v4, v13
	v_cndmask_b32_e64 v13, 0, 0x41b17218, vcc_lo
	v_cmp_gt_f32_e64 vcc_lo, 0x7f800000, |v3|
	v_cndmask_b32_e32 v3, v3, v4, vcc_lo
	s_delay_alu instid0(VALU_DEP_1) | instskip(NEXT) | instid1(VALU_DEP_1)
	v_sub_f32_e32 v3, v3, v13
	v_div_scale_f32 v4, null, v34, v34, v3
	s_delay_alu instid0(VALU_DEP_1) | instskip(SKIP_2) | instid1(VALU_DEP_1)
	v_rcp_f32_e32 v13, v4
	s_waitcnt_depctr 0xfff
	v_fma_f32 v14, -v4, v13, 1.0
	v_fmac_f32_e32 v13, v14, v13
	v_div_scale_f32 v14, vcc_lo, v3, v34, v3
	s_delay_alu instid0(VALU_DEP_1) | instskip(NEXT) | instid1(VALU_DEP_1)
	v_mul_f32_e32 v40, v14, v13
	v_fma_f32 v41, -v4, v40, v14
	s_delay_alu instid0(VALU_DEP_1) | instskip(NEXT) | instid1(VALU_DEP_1)
	v_fmac_f32_e32 v40, v41, v13
	v_fma_f32 v4, -v4, v40, v14
	s_delay_alu instid0(VALU_DEP_1) | instskip(NEXT) | instid1(VALU_DEP_1)
	v_div_fmas_f32 v4, v4, v13, v40
	v_div_fixup_f32 v3, v4, v34, v3
	s_delay_alu instid0(VALU_DEP_1) | instskip(NEXT) | instid1(VALU_DEP_1)
	v_ceil_f32_e32 v3, v3
	v_cvt_i32_f32_e32 v3, v3
	global_store_b32 v7, v3, s[12:13]
.LBB9_34:                               ;   in Loop: Header=BB9_9 Depth=1
	s_or_b32 exec_lo, exec_lo, s35
	v_add_co_u32 v13, vcc_lo, v10, s24
	v_add_co_ci_u32_e32 v14, vcc_lo, 0, v11, vcc_lo
	s_mov_b32 s35, exec_lo
	s_delay_alu instid0(VALU_DEP_1)
	v_cmpx_gt_i64_e64 s[16:17], v[13:14]
	s_cbranch_execz .LBB9_49
; %bb.35:                               ;   in Loop: Header=BB9_9 Depth=1
	s_and_not1_b32 vcc_lo, exec_lo, s11
	s_cbranch_vccnz .LBB9_41
; %bb.36:                               ;   in Loop: Header=BB9_9 Depth=1
	v_mov_b32_e32 v3, 0
	s_and_not1_b32 vcc_lo, exec_lo, s27
	s_cbranch_vccnz .LBB9_45
; %bb.37:                               ;   in Loop: Header=BB9_9 Depth=1
	s_and_not1_b32 vcc_lo, exec_lo, s30
	s_mov_b32 s20, 0
	s_cbranch_vccnz .LBB9_42
; %bb.38:                               ;   in Loop: Header=BB9_9 Depth=1
	v_dual_mov_b32 v3, 0 :: v_dual_mov_b32 v4, v13
	s_mov_b32 s36, 0
	s_mov_b64 s[20:21], s[18:19]
	s_mov_b64 s[22:23], s[0:1]
.LBB9_39:                               ;   Parent Loop BB9_9 Depth=1
                                        ; =>  This Inner Loop Header: Depth=2
	s_clause 0x1
	s_load_b256 s[40:47], s[20:21], 0x4
	s_load_b128 s[48:51], s[20:21], 0x24
	s_load_b128 s[52:55], s[22:23], 0x0
	s_add_u32 s20, s20, 48
	s_addc_u32 s21, s21, 0
	s_add_i32 s36, s36, 4
	s_add_u32 s22, s22, 16
	s_addc_u32 s23, s23, 0
	s_cmp_eq_u32 s31, s36
	s_waitcnt lgkmcnt(0)
	v_mul_hi_u32 v7, s41, v4
	s_delay_alu instid0(VALU_DEP_1) | instskip(NEXT) | instid1(VALU_DEP_1)
	v_add_nc_u32_e32 v7, v4, v7
	v_lshrrev_b32_e32 v7, s42, v7
	s_delay_alu instid0(VALU_DEP_1) | instskip(SKIP_1) | instid1(VALU_DEP_2)
	v_mul_hi_u32 v14, s44, v7
	v_mul_lo_u32 v42, v7, s40
	v_add_nc_u32_e32 v14, v7, v14
	s_delay_alu instid0(VALU_DEP_2) | instskip(NEXT) | instid1(VALU_DEP_2)
	v_sub_nc_u32_e32 v42, v4, v42
	v_lshrrev_b32_e32 v14, s45, v14
	s_delay_alu instid0(VALU_DEP_2) | instskip(NEXT) | instid1(VALU_DEP_2)
	v_mul_lo_u32 v42, v42, s52
	v_mul_hi_u32 v40, s47, v14
	v_mul_lo_u32 v43, v14, s43
	s_delay_alu instid0(VALU_DEP_2) | instskip(NEXT) | instid1(VALU_DEP_2)
	v_add_nc_u32_e32 v40, v14, v40
	v_sub_nc_u32_e32 v7, v7, v43
	s_delay_alu instid0(VALU_DEP_2) | instskip(NEXT) | instid1(VALU_DEP_2)
	v_lshrrev_b32_e32 v40, s48, v40
	v_mul_lo_u32 v7, v7, s53
	s_delay_alu instid0(VALU_DEP_2) | instskip(NEXT) | instid1(VALU_DEP_2)
	v_mul_hi_u32 v41, s50, v40
	v_add3_u32 v3, v42, v3, v7
	s_delay_alu instid0(VALU_DEP_2) | instskip(NEXT) | instid1(VALU_DEP_1)
	v_add_nc_u32_e32 v41, v40, v41
	v_lshrrev_b32_e32 v4, s51, v41
	v_mul_lo_u32 v41, v40, s46
	s_delay_alu instid0(VALU_DEP_2) | instskip(NEXT) | instid1(VALU_DEP_2)
	v_mul_lo_u32 v44, v4, s49
	v_sub_nc_u32_e32 v14, v14, v41
	s_delay_alu instid0(VALU_DEP_2) | instskip(NEXT) | instid1(VALU_DEP_2)
	v_sub_nc_u32_e32 v40, v40, v44
	v_mul_lo_u32 v14, v14, s54
	s_delay_alu instid0(VALU_DEP_2) | instskip(NEXT) | instid1(VALU_DEP_1)
	v_mul_lo_u32 v40, v40, s55
	v_add3_u32 v3, v14, v3, v40
	s_cbranch_scc0 .LBB9_39
; %bb.40:                               ;   in Loop: Header=BB9_9 Depth=1
	s_mov_b32 s20, s31
	s_and_not1_b32 vcc_lo, exec_lo, s34
	s_cbranch_vccz .LBB9_43
	s_branch .LBB9_45
.LBB9_41:                               ;   in Loop: Header=BB9_9 Depth=1
                                        ; implicit-def: $vgpr3
	s_branch .LBB9_46
.LBB9_42:                               ;   in Loop: Header=BB9_9 Depth=1
	v_mov_b32_e32 v4, v13
	s_and_not1_b32 vcc_lo, exec_lo, s34
	s_cbranch_vccnz .LBB9_45
.LBB9_43:                               ;   in Loop: Header=BB9_9 Depth=1
	s_lshl_b32 s21, s20, 2
	s_mul_i32 s22, s20, 12
	s_add_u32 s20, s0, s21
	s_addc_u32 s21, s1, 0
	s_add_u32 s22, s18, s22
	s_addc_u32 s23, s19, 0
	s_mov_b32 s36, s29
	.p2align	6
.LBB9_44:                               ;   Parent Loop BB9_9 Depth=1
                                        ; =>  This Inner Loop Header: Depth=2
	s_clause 0x1
	s_load_b64 s[38:39], s[22:23], 0x4
	s_load_b32 s37, s[22:23], 0xc
	s_add_u32 s22, s22, 12
	s_addc_u32 s23, s23, 0
	s_waitcnt lgkmcnt(0)
	v_mul_hi_u32 v7, s39, v4
	s_load_b32 s39, s[20:21], 0x0
	s_add_u32 s20, s20, 4
	s_addc_u32 s21, s21, 0
	s_add_i32 s36, s36, -1
	s_delay_alu instid0(SALU_CYCLE_1) | instskip(NEXT) | instid1(VALU_DEP_1)
	s_cmp_lg_u32 s36, 0
	v_add_nc_u32_e32 v7, v4, v7
	s_delay_alu instid0(VALU_DEP_1) | instskip(NEXT) | instid1(VALU_DEP_1)
	v_lshrrev_b32_e32 v7, s37, v7
	v_mul_lo_u32 v14, v7, s38
	s_delay_alu instid0(VALU_DEP_1) | instskip(SKIP_1) | instid1(VALU_DEP_1)
	v_sub_nc_u32_e32 v4, v4, v14
	s_waitcnt lgkmcnt(0)
	v_mad_u64_u32 v[40:41], null, v4, s39, v[3:4]
	s_delay_alu instid0(VALU_DEP_1)
	v_dual_mov_b32 v4, v7 :: v_dual_mov_b32 v3, v40
	s_cbranch_scc1 .LBB9_44
.LBB9_45:                               ;   in Loop: Header=BB9_9 Depth=1
	s_cbranch_execnz .LBB9_48
.LBB9_46:                               ;   in Loop: Header=BB9_9 Depth=1
	v_mul_hi_u32 v3, v13, s6
	s_and_not1_b32 vcc_lo, exec_lo, s4
	s_delay_alu instid0(VALU_DEP_1) | instskip(NEXT) | instid1(VALU_DEP_1)
	v_add_nc_u32_e32 v3, v3, v13
	v_lshrrev_b32_e32 v4, s7, v3
	s_delay_alu instid0(VALU_DEP_1) | instskip(NEXT) | instid1(VALU_DEP_1)
	v_mul_lo_u32 v3, v4, s5
	v_sub_nc_u32_e32 v3, v13, v3
	s_delay_alu instid0(VALU_DEP_1)
	v_mul_lo_u32 v3, v3, s14
	s_cbranch_vccnz .LBB9_48
; %bb.47:                               ;   in Loop: Header=BB9_9 Depth=1
	v_mul_hi_u32 v7, s9, v4
	s_delay_alu instid0(VALU_DEP_1) | instskip(NEXT) | instid1(VALU_DEP_1)
	v_add_nc_u32_e32 v7, v4, v7
	v_lshrrev_b32_e32 v7, s10, v7
	s_delay_alu instid0(VALU_DEP_1) | instskip(NEXT) | instid1(VALU_DEP_1)
	v_mul_lo_u32 v7, v7, s8
	v_sub_nc_u32_e32 v4, v4, v7
	s_delay_alu instid0(VALU_DEP_1) | instskip(NEXT) | instid1(VALU_DEP_1)
	v_mad_u64_u32 v[13:14], null, v4, s15, v[3:4]
	v_mov_b32_e32 v3, v13
.LBB9_48:                               ;   in Loop: Header=BB9_9 Depth=1
	v_lshrrev_b32_e32 v4, 11, v6
	s_delay_alu instid0(VALU_DEP_1) | instskip(SKIP_1) | instid1(VALU_DEP_2)
	v_cvt_f64_u32_e32 v[6:7], v4
	v_cvt_f64_u32_e32 v[4:5], v5
	v_ldexp_f64 v[6:7], v[6:7], 32
	s_delay_alu instid0(VALU_DEP_1) | instskip(NEXT) | instid1(VALU_DEP_1)
	v_add_f64 v[4:5], v[6:7], v[4:5]
	v_fma_f64 v[4:5], 0x3ca00000, v[4:5], 0x3ca00000
	s_delay_alu instid0(VALU_DEP_1) | instskip(NEXT) | instid1(VALU_DEP_1)
	v_cvt_f32_f64_e32 v4, v[4:5]
	v_cmp_gt_f32_e32 vcc_lo, 0x800000, v4
	v_cndmask_b32_e64 v5, 1.0, 0x4f800000, vcc_lo
	s_delay_alu instid0(VALU_DEP_1) | instskip(NEXT) | instid1(VALU_DEP_1)
	v_mul_f32_e32 v4, v4, v5
	v_log_f32_e32 v4, v4
	s_waitcnt_depctr 0xfff
	v_mul_f32_e32 v5, 0x3f317217, v4
	s_delay_alu instid0(VALU_DEP_1) | instskip(NEXT) | instid1(VALU_DEP_1)
	v_fma_f32 v6, 0x3f317217, v4, -v5
	v_fmac_f32_e32 v6, 0x3377d1cf, v4
	s_delay_alu instid0(VALU_DEP_1) | instskip(SKIP_2) | instid1(VALU_DEP_3)
	v_add_f32_e32 v5, v5, v6
	v_cndmask_b32_e64 v6, 0, 0x41b17218, vcc_lo
	v_cmp_gt_f32_e64 vcc_lo, 0x7f800000, |v4|
	v_cndmask_b32_e32 v4, v4, v5, vcc_lo
	s_delay_alu instid0(VALU_DEP_1) | instskip(NEXT) | instid1(VALU_DEP_1)
	v_sub_f32_e32 v4, v4, v6
	v_div_scale_f32 v5, null, v34, v34, v4
	s_delay_alu instid0(VALU_DEP_1) | instskip(SKIP_2) | instid1(VALU_DEP_1)
	v_rcp_f32_e32 v6, v5
	s_waitcnt_depctr 0xfff
	v_fma_f32 v7, -v5, v6, 1.0
	v_fmac_f32_e32 v6, v7, v6
	v_div_scale_f32 v7, vcc_lo, v4, v34, v4
	s_delay_alu instid0(VALU_DEP_1) | instskip(NEXT) | instid1(VALU_DEP_1)
	v_mul_f32_e32 v13, v7, v6
	v_fma_f32 v14, -v5, v13, v7
	s_delay_alu instid0(VALU_DEP_1) | instskip(NEXT) | instid1(VALU_DEP_1)
	v_fmac_f32_e32 v13, v14, v6
	v_fma_f32 v5, -v5, v13, v7
	s_delay_alu instid0(VALU_DEP_1) | instskip(NEXT) | instid1(VALU_DEP_1)
	v_div_fmas_f32 v5, v5, v6, v13
	v_div_fixup_f32 v4, v5, v34, v4
	s_delay_alu instid0(VALU_DEP_1) | instskip(NEXT) | instid1(VALU_DEP_1)
	v_ceil_f32_e32 v4, v4
	v_cvt_i32_f32_e32 v4, v4
	global_store_b32 v3, v4, s[12:13]
.LBB9_49:                               ;   in Loop: Header=BB9_9 Depth=1
	s_or_b32 exec_lo, exec_lo, s35
	v_add_co_u32 v3, vcc_lo, v10, s28
	v_add_co_ci_u32_e32 v4, vcc_lo, 0, v11, vcc_lo
	s_mov_b32 s35, exec_lo
	s_delay_alu instid0(VALU_DEP_1)
	v_cmpx_gt_i64_e64 s[16:17], v[3:4]
	s_cbranch_execz .LBB9_64
; %bb.50:                               ;   in Loop: Header=BB9_9 Depth=1
	s_and_not1_b32 vcc_lo, exec_lo, s11
	s_cbranch_vccnz .LBB9_56
; %bb.51:                               ;   in Loop: Header=BB9_9 Depth=1
	v_mov_b32_e32 v4, 0
	s_and_not1_b32 vcc_lo, exec_lo, s27
	s_cbranch_vccnz .LBB9_60
; %bb.52:                               ;   in Loop: Header=BB9_9 Depth=1
	s_and_not1_b32 vcc_lo, exec_lo, s30
	s_mov_b32 s20, 0
	s_cbranch_vccnz .LBB9_57
; %bb.53:                               ;   in Loop: Header=BB9_9 Depth=1
	v_dual_mov_b32 v4, 0 :: v_dual_mov_b32 v5, v3
	s_mov_b32 s36, 0
	s_mov_b64 s[20:21], s[18:19]
	s_mov_b64 s[22:23], s[0:1]
.LBB9_54:                               ;   Parent Loop BB9_9 Depth=1
                                        ; =>  This Inner Loop Header: Depth=2
	s_clause 0x1
	s_load_b256 s[40:47], s[20:21], 0x4
	s_load_b128 s[48:51], s[20:21], 0x24
	s_load_b128 s[52:55], s[22:23], 0x0
	s_add_u32 s20, s20, 48
	s_addc_u32 s21, s21, 0
	s_add_i32 s36, s36, 4
	s_add_u32 s22, s22, 16
	s_addc_u32 s23, s23, 0
	s_cmp_eq_u32 s31, s36
	s_waitcnt lgkmcnt(0)
	v_mul_hi_u32 v6, s41, v5
	s_delay_alu instid0(VALU_DEP_1) | instskip(NEXT) | instid1(VALU_DEP_1)
	v_add_nc_u32_e32 v6, v5, v6
	v_lshrrev_b32_e32 v6, s42, v6
	s_delay_alu instid0(VALU_DEP_1) | instskip(SKIP_1) | instid1(VALU_DEP_2)
	v_mul_hi_u32 v7, s44, v6
	v_mul_lo_u32 v40, v6, s40
	v_add_nc_u32_e32 v7, v6, v7
	s_delay_alu instid0(VALU_DEP_2) | instskip(NEXT) | instid1(VALU_DEP_2)
	v_sub_nc_u32_e32 v40, v5, v40
	v_lshrrev_b32_e32 v7, s45, v7
	s_delay_alu instid0(VALU_DEP_2) | instskip(NEXT) | instid1(VALU_DEP_2)
	v_mul_lo_u32 v40, v40, s52
	v_mul_hi_u32 v13, s47, v7
	v_mul_lo_u32 v41, v7, s43
	s_delay_alu instid0(VALU_DEP_2) | instskip(NEXT) | instid1(VALU_DEP_2)
	v_add_nc_u32_e32 v13, v7, v13
	v_sub_nc_u32_e32 v6, v6, v41
	s_delay_alu instid0(VALU_DEP_2) | instskip(NEXT) | instid1(VALU_DEP_2)
	v_lshrrev_b32_e32 v13, s48, v13
	v_mul_lo_u32 v6, v6, s53
	s_delay_alu instid0(VALU_DEP_2) | instskip(NEXT) | instid1(VALU_DEP_2)
	v_mul_hi_u32 v14, s50, v13
	v_add3_u32 v4, v40, v4, v6
	s_delay_alu instid0(VALU_DEP_2) | instskip(NEXT) | instid1(VALU_DEP_1)
	v_add_nc_u32_e32 v14, v13, v14
	v_lshrrev_b32_e32 v5, s51, v14
	v_mul_lo_u32 v14, v13, s46
	s_delay_alu instid0(VALU_DEP_2) | instskip(NEXT) | instid1(VALU_DEP_2)
	v_mul_lo_u32 v42, v5, s49
	v_sub_nc_u32_e32 v7, v7, v14
	s_delay_alu instid0(VALU_DEP_2) | instskip(NEXT) | instid1(VALU_DEP_2)
	v_sub_nc_u32_e32 v13, v13, v42
	v_mul_lo_u32 v7, v7, s54
	s_delay_alu instid0(VALU_DEP_2) | instskip(NEXT) | instid1(VALU_DEP_1)
	v_mul_lo_u32 v13, v13, s55
	v_add3_u32 v4, v7, v4, v13
	s_cbranch_scc0 .LBB9_54
; %bb.55:                               ;   in Loop: Header=BB9_9 Depth=1
	s_mov_b32 s20, s31
	s_and_not1_b32 vcc_lo, exec_lo, s34
	s_cbranch_vccz .LBB9_58
	s_branch .LBB9_60
.LBB9_56:                               ;   in Loop: Header=BB9_9 Depth=1
                                        ; implicit-def: $vgpr4
	s_branch .LBB9_61
.LBB9_57:                               ;   in Loop: Header=BB9_9 Depth=1
	v_mov_b32_e32 v5, v3
	s_and_not1_b32 vcc_lo, exec_lo, s34
	s_cbranch_vccnz .LBB9_60
.LBB9_58:                               ;   in Loop: Header=BB9_9 Depth=1
	s_lshl_b32 s21, s20, 2
	s_mul_i32 s22, s20, 12
	s_add_u32 s20, s0, s21
	s_addc_u32 s21, s1, 0
	s_add_u32 s22, s18, s22
	s_addc_u32 s23, s19, 0
	s_mov_b32 s36, s29
	.p2align	6
.LBB9_59:                               ;   Parent Loop BB9_9 Depth=1
                                        ; =>  This Inner Loop Header: Depth=2
	s_clause 0x1
	s_load_b64 s[38:39], s[22:23], 0x4
	s_load_b32 s37, s[22:23], 0xc
	s_add_u32 s22, s22, 12
	s_addc_u32 s23, s23, 0
	s_waitcnt lgkmcnt(0)
	v_mul_hi_u32 v6, s39, v5
	s_load_b32 s39, s[20:21], 0x0
	s_add_u32 s20, s20, 4
	s_addc_u32 s21, s21, 0
	s_add_i32 s36, s36, -1
	s_delay_alu instid0(SALU_CYCLE_1) | instskip(NEXT) | instid1(VALU_DEP_1)
	s_cmp_lg_u32 s36, 0
	v_add_nc_u32_e32 v6, v5, v6
	s_delay_alu instid0(VALU_DEP_1) | instskip(NEXT) | instid1(VALU_DEP_1)
	v_lshrrev_b32_e32 v13, s37, v6
	v_mul_lo_u32 v6, v13, s38
	s_delay_alu instid0(VALU_DEP_1) | instskip(SKIP_1) | instid1(VALU_DEP_1)
	v_sub_nc_u32_e32 v5, v5, v6
	s_waitcnt lgkmcnt(0)
	v_mad_u64_u32 v[6:7], null, v5, s39, v[4:5]
	s_delay_alu instid0(VALU_DEP_1)
	v_dual_mov_b32 v5, v13 :: v_dual_mov_b32 v4, v6
	s_cbranch_scc1 .LBB9_59
.LBB9_60:                               ;   in Loop: Header=BB9_9 Depth=1
	s_cbranch_execnz .LBB9_63
.LBB9_61:                               ;   in Loop: Header=BB9_9 Depth=1
	v_mul_hi_u32 v4, v3, s6
	s_and_not1_b32 vcc_lo, exec_lo, s4
	s_delay_alu instid0(VALU_DEP_1) | instskip(NEXT) | instid1(VALU_DEP_1)
	v_add_nc_u32_e32 v4, v4, v3
	v_lshrrev_b32_e32 v5, s7, v4
	s_delay_alu instid0(VALU_DEP_1) | instskip(NEXT) | instid1(VALU_DEP_1)
	v_mul_lo_u32 v4, v5, s5
	v_sub_nc_u32_e32 v3, v3, v4
	s_delay_alu instid0(VALU_DEP_1)
	v_mul_lo_u32 v4, v3, s14
	s_cbranch_vccnz .LBB9_63
; %bb.62:                               ;   in Loop: Header=BB9_9 Depth=1
	v_mul_hi_u32 v3, s9, v5
	s_delay_alu instid0(VALU_DEP_1) | instskip(NEXT) | instid1(VALU_DEP_1)
	v_add_nc_u32_e32 v3, v5, v3
	v_lshrrev_b32_e32 v3, s10, v3
	s_delay_alu instid0(VALU_DEP_1) | instskip(NEXT) | instid1(VALU_DEP_1)
	v_mul_lo_u32 v3, v3, s8
	v_sub_nc_u32_e32 v3, v5, v3
	s_delay_alu instid0(VALU_DEP_1) | instskip(NEXT) | instid1(VALU_DEP_1)
	v_mad_u64_u32 v[5:6], null, v3, s15, v[4:5]
	v_mov_b32_e32 v4, v5
.LBB9_63:                               ;   in Loop: Header=BB9_9 Depth=1
	global_store_b32 v4, v38, s[12:13]
.LBB9_64:                               ;   in Loop: Header=BB9_9 Depth=1
	s_or_b32 exec_lo, exec_lo, s35
	v_add_co_u32 v3, vcc_lo, v10, s33
	v_add_co_ci_u32_e32 v4, vcc_lo, 0, v11, vcc_lo
	s_mov_b32 s35, exec_lo
	s_delay_alu instid0(VALU_DEP_1)
	v_cmpx_gt_i64_e64 s[16:17], v[3:4]
	s_cbranch_execz .LBB9_8
; %bb.65:                               ;   in Loop: Header=BB9_9 Depth=1
	s_and_not1_b32 vcc_lo, exec_lo, s11
	s_cbranch_vccnz .LBB9_71
; %bb.66:                               ;   in Loop: Header=BB9_9 Depth=1
	v_mov_b32_e32 v4, 0
	s_and_not1_b32 vcc_lo, exec_lo, s27
	s_cbranch_vccnz .LBB9_75
; %bb.67:                               ;   in Loop: Header=BB9_9 Depth=1
	s_and_not1_b32 vcc_lo, exec_lo, s30
	s_mov_b32 s20, 0
	s_cbranch_vccnz .LBB9_72
; %bb.68:                               ;   in Loop: Header=BB9_9 Depth=1
	v_dual_mov_b32 v4, 0 :: v_dual_mov_b32 v5, v3
	s_mov_b32 s36, 0
	s_mov_b64 s[20:21], s[18:19]
	s_mov_b64 s[22:23], s[0:1]
.LBB9_69:                               ;   Parent Loop BB9_9 Depth=1
                                        ; =>  This Inner Loop Header: Depth=2
	s_clause 0x1
	s_load_b256 s[40:47], s[20:21], 0x4
	s_load_b128 s[48:51], s[20:21], 0x24
	s_load_b128 s[52:55], s[22:23], 0x0
	s_add_u32 s20, s20, 48
	s_addc_u32 s21, s21, 0
	s_add_i32 s36, s36, 4
	s_add_u32 s22, s22, 16
	s_addc_u32 s23, s23, 0
	s_cmp_eq_u32 s31, s36
	s_waitcnt lgkmcnt(0)
	v_mul_hi_u32 v6, s41, v5
	s_delay_alu instid0(VALU_DEP_1) | instskip(NEXT) | instid1(VALU_DEP_1)
	v_add_nc_u32_e32 v6, v5, v6
	v_lshrrev_b32_e32 v6, s42, v6
	s_delay_alu instid0(VALU_DEP_1) | instskip(SKIP_1) | instid1(VALU_DEP_2)
	v_mul_hi_u32 v7, s44, v6
	v_mul_lo_u32 v40, v6, s40
	v_add_nc_u32_e32 v7, v6, v7
	s_delay_alu instid0(VALU_DEP_2) | instskip(NEXT) | instid1(VALU_DEP_2)
	v_sub_nc_u32_e32 v40, v5, v40
	v_lshrrev_b32_e32 v7, s45, v7
	s_delay_alu instid0(VALU_DEP_2) | instskip(NEXT) | instid1(VALU_DEP_2)
	v_mul_lo_u32 v40, v40, s52
	v_mul_hi_u32 v13, s47, v7
	v_mul_lo_u32 v41, v7, s43
	s_delay_alu instid0(VALU_DEP_2) | instskip(NEXT) | instid1(VALU_DEP_2)
	v_add_nc_u32_e32 v13, v7, v13
	v_sub_nc_u32_e32 v6, v6, v41
	s_delay_alu instid0(VALU_DEP_2) | instskip(NEXT) | instid1(VALU_DEP_2)
	v_lshrrev_b32_e32 v13, s48, v13
	v_mul_lo_u32 v6, v6, s53
	s_delay_alu instid0(VALU_DEP_2) | instskip(NEXT) | instid1(VALU_DEP_2)
	v_mul_hi_u32 v14, s50, v13
	v_add3_u32 v4, v40, v4, v6
	s_delay_alu instid0(VALU_DEP_2) | instskip(NEXT) | instid1(VALU_DEP_1)
	v_add_nc_u32_e32 v14, v13, v14
	v_lshrrev_b32_e32 v5, s51, v14
	v_mul_lo_u32 v14, v13, s46
	s_delay_alu instid0(VALU_DEP_2) | instskip(NEXT) | instid1(VALU_DEP_2)
	v_mul_lo_u32 v42, v5, s49
	v_sub_nc_u32_e32 v7, v7, v14
	s_delay_alu instid0(VALU_DEP_2) | instskip(NEXT) | instid1(VALU_DEP_2)
	v_sub_nc_u32_e32 v13, v13, v42
	v_mul_lo_u32 v7, v7, s54
	s_delay_alu instid0(VALU_DEP_2) | instskip(NEXT) | instid1(VALU_DEP_1)
	v_mul_lo_u32 v13, v13, s55
	v_add3_u32 v4, v7, v4, v13
	s_cbranch_scc0 .LBB9_69
; %bb.70:                               ;   in Loop: Header=BB9_9 Depth=1
	s_mov_b32 s20, s31
	s_and_not1_b32 vcc_lo, exec_lo, s34
	s_cbranch_vccz .LBB9_73
	s_branch .LBB9_75
.LBB9_71:                               ;   in Loop: Header=BB9_9 Depth=1
                                        ; implicit-def: $vgpr4
	s_branch .LBB9_76
.LBB9_72:                               ;   in Loop: Header=BB9_9 Depth=1
	v_mov_b32_e32 v5, v3
	s_and_not1_b32 vcc_lo, exec_lo, s34
	s_cbranch_vccnz .LBB9_75
.LBB9_73:                               ;   in Loop: Header=BB9_9 Depth=1
	s_lshl_b32 s21, s20, 2
	s_mul_i32 s22, s20, 12
	s_add_u32 s20, s0, s21
	s_addc_u32 s21, s1, 0
	s_add_u32 s22, s18, s22
	s_addc_u32 s23, s19, 0
	s_mov_b32 s36, s29
	.p2align	6
.LBB9_74:                               ;   Parent Loop BB9_9 Depth=1
                                        ; =>  This Inner Loop Header: Depth=2
	s_clause 0x1
	s_load_b64 s[38:39], s[22:23], 0x4
	s_load_b32 s37, s[22:23], 0xc
	s_add_u32 s22, s22, 12
	s_addc_u32 s23, s23, 0
	s_waitcnt lgkmcnt(0)
	v_mul_hi_u32 v6, s39, v5
	s_load_b32 s39, s[20:21], 0x0
	s_add_u32 s20, s20, 4
	s_addc_u32 s21, s21, 0
	s_add_i32 s36, s36, -1
	s_delay_alu instid0(SALU_CYCLE_1) | instskip(NEXT) | instid1(VALU_DEP_1)
	s_cmp_lg_u32 s36, 0
	v_add_nc_u32_e32 v6, v5, v6
	s_delay_alu instid0(VALU_DEP_1) | instskip(NEXT) | instid1(VALU_DEP_1)
	v_lshrrev_b32_e32 v13, s37, v6
	v_mul_lo_u32 v6, v13, s38
	s_delay_alu instid0(VALU_DEP_1) | instskip(SKIP_1) | instid1(VALU_DEP_1)
	v_sub_nc_u32_e32 v5, v5, v6
	s_waitcnt lgkmcnt(0)
	v_mad_u64_u32 v[6:7], null, v5, s39, v[4:5]
	s_delay_alu instid0(VALU_DEP_1)
	v_dual_mov_b32 v5, v13 :: v_dual_mov_b32 v4, v6
	s_cbranch_scc1 .LBB9_74
.LBB9_75:                               ;   in Loop: Header=BB9_9 Depth=1
	s_cbranch_execnz .LBB9_7
.LBB9_76:                               ;   in Loop: Header=BB9_9 Depth=1
	v_mul_hi_u32 v4, v3, s6
	s_and_not1_b32 vcc_lo, exec_lo, s4
	s_delay_alu instid0(VALU_DEP_1) | instskip(NEXT) | instid1(VALU_DEP_1)
	v_add_nc_u32_e32 v4, v4, v3
	v_lshrrev_b32_e32 v5, s7, v4
	s_delay_alu instid0(VALU_DEP_1) | instskip(NEXT) | instid1(VALU_DEP_1)
	v_mul_lo_u32 v4, v5, s5
	v_sub_nc_u32_e32 v3, v3, v4
	s_delay_alu instid0(VALU_DEP_1)
	v_mul_lo_u32 v4, v3, s14
	s_cbranch_vccnz .LBB9_7
; %bb.77:                               ;   in Loop: Header=BB9_9 Depth=1
	v_mul_hi_u32 v3, s9, v5
	s_delay_alu instid0(VALU_DEP_1) | instskip(NEXT) | instid1(VALU_DEP_1)
	v_add_nc_u32_e32 v3, v5, v3
	v_lshrrev_b32_e32 v3, s10, v3
	s_delay_alu instid0(VALU_DEP_1) | instskip(NEXT) | instid1(VALU_DEP_1)
	v_mul_lo_u32 v3, v3, s8
	v_sub_nc_u32_e32 v3, v5, v3
	s_delay_alu instid0(VALU_DEP_1) | instskip(NEXT) | instid1(VALU_DEP_1)
	v_mad_u64_u32 v[5:6], null, v3, s15, v[4:5]
	v_mov_b32_e32 v4, v5
	s_branch .LBB9_7
.LBB9_78:
	s_endpgm
.LBB9_79:
                                        ; implicit-def: $sgpr2_sgpr3
	s_branch .LBB9_4
	.section	.rodata,"a",@progbits
	.p2align	6, 0x0
	.amdhsa_kernel _ZN2at6native12_GLOBAL__N_143distribution_elementwise_grid_stride_kernelIfLi4EZNS0_9templates4cuda21uniform_and_transformIifPNS_17CUDAGeneratorImplEZZZNS4_16geometric_kernelIS7_EEvRNS_18TensorIteratorBaseEdT_ENKUlvE_clEvENKUlvE1_clEvEUlfE_EEvSA_T1_T2_EUlP25hiprandStatePhilox4_32_10E_ZNS1_27distribution_nullary_kernelIif15HIP_vector_typeIdLj2EES7_SJ_SE_EEvSA_SG_RKT3_T4_EUlifE0_EEvlNS_15PhiloxCudaStateESF_SG_
		.amdhsa_group_segment_fixed_size 0
		.amdhsa_private_segment_fixed_size 0
		.amdhsa_kernarg_size 584
		.amdhsa_user_sgpr_count 15
		.amdhsa_user_sgpr_dispatch_ptr 0
		.amdhsa_user_sgpr_queue_ptr 0
		.amdhsa_user_sgpr_kernarg_segment_ptr 1
		.amdhsa_user_sgpr_dispatch_id 0
		.amdhsa_user_sgpr_private_segment_size 0
		.amdhsa_wavefront_size32 1
		.amdhsa_uses_dynamic_stack 0
		.amdhsa_enable_private_segment 0
		.amdhsa_system_sgpr_workgroup_id_x 1
		.amdhsa_system_sgpr_workgroup_id_y 0
		.amdhsa_system_sgpr_workgroup_id_z 0
		.amdhsa_system_sgpr_workgroup_info 0
		.amdhsa_system_vgpr_workitem_id 0
		.amdhsa_next_free_vgpr 46
		.amdhsa_next_free_sgpr 56
		.amdhsa_reserve_vcc 1
		.amdhsa_float_round_mode_32 0
		.amdhsa_float_round_mode_16_64 0
		.amdhsa_float_denorm_mode_32 3
		.amdhsa_float_denorm_mode_16_64 3
		.amdhsa_dx10_clamp 1
		.amdhsa_ieee_mode 1
		.amdhsa_fp16_overflow 0
		.amdhsa_workgroup_processor_mode 1
		.amdhsa_memory_ordered 1
		.amdhsa_forward_progress 0
		.amdhsa_shared_vgpr_count 0
		.amdhsa_exception_fp_ieee_invalid_op 0
		.amdhsa_exception_fp_denorm_src 0
		.amdhsa_exception_fp_ieee_div_zero 0
		.amdhsa_exception_fp_ieee_overflow 0
		.amdhsa_exception_fp_ieee_underflow 0
		.amdhsa_exception_fp_ieee_inexact 0
		.amdhsa_exception_int_div_zero 0
	.end_amdhsa_kernel
	.section	.text._ZN2at6native12_GLOBAL__N_143distribution_elementwise_grid_stride_kernelIfLi4EZNS0_9templates4cuda21uniform_and_transformIifPNS_17CUDAGeneratorImplEZZZNS4_16geometric_kernelIS7_EEvRNS_18TensorIteratorBaseEdT_ENKUlvE_clEvENKUlvE1_clEvEUlfE_EEvSA_T1_T2_EUlP25hiprandStatePhilox4_32_10E_ZNS1_27distribution_nullary_kernelIif15HIP_vector_typeIdLj2EES7_SJ_SE_EEvSA_SG_RKT3_T4_EUlifE0_EEvlNS_15PhiloxCudaStateESF_SG_,"axG",@progbits,_ZN2at6native12_GLOBAL__N_143distribution_elementwise_grid_stride_kernelIfLi4EZNS0_9templates4cuda21uniform_and_transformIifPNS_17CUDAGeneratorImplEZZZNS4_16geometric_kernelIS7_EEvRNS_18TensorIteratorBaseEdT_ENKUlvE_clEvENKUlvE1_clEvEUlfE_EEvSA_T1_T2_EUlP25hiprandStatePhilox4_32_10E_ZNS1_27distribution_nullary_kernelIif15HIP_vector_typeIdLj2EES7_SJ_SE_EEvSA_SG_RKT3_T4_EUlifE0_EEvlNS_15PhiloxCudaStateESF_SG_,comdat
.Lfunc_end9:
	.size	_ZN2at6native12_GLOBAL__N_143distribution_elementwise_grid_stride_kernelIfLi4EZNS0_9templates4cuda21uniform_and_transformIifPNS_17CUDAGeneratorImplEZZZNS4_16geometric_kernelIS7_EEvRNS_18TensorIteratorBaseEdT_ENKUlvE_clEvENKUlvE1_clEvEUlfE_EEvSA_T1_T2_EUlP25hiprandStatePhilox4_32_10E_ZNS1_27distribution_nullary_kernelIif15HIP_vector_typeIdLj2EES7_SJ_SE_EEvSA_SG_RKT3_T4_EUlifE0_EEvlNS_15PhiloxCudaStateESF_SG_, .Lfunc_end9-_ZN2at6native12_GLOBAL__N_143distribution_elementwise_grid_stride_kernelIfLi4EZNS0_9templates4cuda21uniform_and_transformIifPNS_17CUDAGeneratorImplEZZZNS4_16geometric_kernelIS7_EEvRNS_18TensorIteratorBaseEdT_ENKUlvE_clEvENKUlvE1_clEvEUlfE_EEvSA_T1_T2_EUlP25hiprandStatePhilox4_32_10E_ZNS1_27distribution_nullary_kernelIif15HIP_vector_typeIdLj2EES7_SJ_SE_EEvSA_SG_RKT3_T4_EUlifE0_EEvlNS_15PhiloxCudaStateESF_SG_
                                        ; -- End function
	.section	.AMDGPU.csdata,"",@progbits
; Kernel info:
; codeLenInByte = 6516
; NumSgprs: 58
; NumVgprs: 46
; ScratchSize: 0
; MemoryBound: 0
; FloatMode: 240
; IeeeMode: 1
; LDSByteSize: 0 bytes/workgroup (compile time only)
; SGPRBlocks: 7
; VGPRBlocks: 5
; NumSGPRsForWavesPerEU: 58
; NumVGPRsForWavesPerEU: 46
; Occupancy: 16
; WaveLimiterHint : 1
; COMPUTE_PGM_RSRC2:SCRATCH_EN: 0
; COMPUTE_PGM_RSRC2:USER_SGPR: 15
; COMPUTE_PGM_RSRC2:TRAP_HANDLER: 0
; COMPUTE_PGM_RSRC2:TGID_X_EN: 1
; COMPUTE_PGM_RSRC2:TGID_Y_EN: 0
; COMPUTE_PGM_RSRC2:TGID_Z_EN: 0
; COMPUTE_PGM_RSRC2:TIDIG_COMP_CNT: 0
	.section	.text._ZN2at6native12_GLOBAL__N_143distribution_elementwise_grid_stride_kernelIfLi4EZNS0_9templates4cuda21uniform_and_transformIifPNS_17CUDAGeneratorImplEZZZNS4_16geometric_kernelIS7_EEvRNS_18TensorIteratorBaseEdT_ENKUlvE_clEvENKUlvE1_clEvEUlfE_EEvSA_T1_T2_EUlP25hiprandStatePhilox4_32_10E0_ZNS1_27distribution_nullary_kernelIif15HIP_vector_typeIfLj4EES7_SJ_SE_EEvSA_SG_RKT3_T4_EUlifE_EEvlNS_15PhiloxCudaStateESF_SG_,"axG",@progbits,_ZN2at6native12_GLOBAL__N_143distribution_elementwise_grid_stride_kernelIfLi4EZNS0_9templates4cuda21uniform_and_transformIifPNS_17CUDAGeneratorImplEZZZNS4_16geometric_kernelIS7_EEvRNS_18TensorIteratorBaseEdT_ENKUlvE_clEvENKUlvE1_clEvEUlfE_EEvSA_T1_T2_EUlP25hiprandStatePhilox4_32_10E0_ZNS1_27distribution_nullary_kernelIif15HIP_vector_typeIfLj4EES7_SJ_SE_EEvSA_SG_RKT3_T4_EUlifE_EEvlNS_15PhiloxCudaStateESF_SG_,comdat
	.globl	_ZN2at6native12_GLOBAL__N_143distribution_elementwise_grid_stride_kernelIfLi4EZNS0_9templates4cuda21uniform_and_transformIifPNS_17CUDAGeneratorImplEZZZNS4_16geometric_kernelIS7_EEvRNS_18TensorIteratorBaseEdT_ENKUlvE_clEvENKUlvE1_clEvEUlfE_EEvSA_T1_T2_EUlP25hiprandStatePhilox4_32_10E0_ZNS1_27distribution_nullary_kernelIif15HIP_vector_typeIfLj4EES7_SJ_SE_EEvSA_SG_RKT3_T4_EUlifE_EEvlNS_15PhiloxCudaStateESF_SG_ ; -- Begin function _ZN2at6native12_GLOBAL__N_143distribution_elementwise_grid_stride_kernelIfLi4EZNS0_9templates4cuda21uniform_and_transformIifPNS_17CUDAGeneratorImplEZZZNS4_16geometric_kernelIS7_EEvRNS_18TensorIteratorBaseEdT_ENKUlvE_clEvENKUlvE1_clEvEUlfE_EEvSA_T1_T2_EUlP25hiprandStatePhilox4_32_10E0_ZNS1_27distribution_nullary_kernelIif15HIP_vector_typeIfLj4EES7_SJ_SE_EEvSA_SG_RKT3_T4_EUlifE_EEvlNS_15PhiloxCudaStateESF_SG_
	.p2align	8
	.type	_ZN2at6native12_GLOBAL__N_143distribution_elementwise_grid_stride_kernelIfLi4EZNS0_9templates4cuda21uniform_and_transformIifPNS_17CUDAGeneratorImplEZZZNS4_16geometric_kernelIS7_EEvRNS_18TensorIteratorBaseEdT_ENKUlvE_clEvENKUlvE1_clEvEUlfE_EEvSA_T1_T2_EUlP25hiprandStatePhilox4_32_10E0_ZNS1_27distribution_nullary_kernelIif15HIP_vector_typeIfLj4EES7_SJ_SE_EEvSA_SG_RKT3_T4_EUlifE_EEvlNS_15PhiloxCudaStateESF_SG_,@function
_ZN2at6native12_GLOBAL__N_143distribution_elementwise_grid_stride_kernelIfLi4EZNS0_9templates4cuda21uniform_and_transformIifPNS_17CUDAGeneratorImplEZZZNS4_16geometric_kernelIS7_EEvRNS_18TensorIteratorBaseEdT_ENKUlvE_clEvENKUlvE1_clEvEUlfE_EEvSA_T1_T2_EUlP25hiprandStatePhilox4_32_10E0_ZNS1_27distribution_nullary_kernelIif15HIP_vector_typeIfLj4EES7_SJ_SE_EEvSA_SG_RKT3_T4_EUlifE_EEvlNS_15PhiloxCudaStateESF_SG_: ; @_ZN2at6native12_GLOBAL__N_143distribution_elementwise_grid_stride_kernelIfLi4EZNS0_9templates4cuda21uniform_and_transformIifPNS_17CUDAGeneratorImplEZZZNS4_16geometric_kernelIS7_EEvRNS_18TensorIteratorBaseEdT_ENKUlvE_clEvENKUlvE1_clEvEUlfE_EEvSA_T1_T2_EUlP25hiprandStatePhilox4_32_10E0_ZNS1_27distribution_nullary_kernelIif15HIP_vector_typeIfLj4EES7_SJ_SE_EEvSA_SG_RKT3_T4_EUlifE_EEvlNS_15PhiloxCudaStateESF_SG_
; %bb.0:
	s_clause 0x2
	s_load_b64 s[8:9], s[0:1], 0x10
	s_load_b128 s[4:7], s[0:1], 0x0
	s_load_b32 s2, s[0:1], 0x20
	s_waitcnt lgkmcnt(0)
	v_dual_mov_b32 v2, s8 :: v_dual_mov_b32 v3, s9
	v_dual_mov_b32 v12, s7 :: v_dual_mov_b32 v11, s6
	s_bitcmp0_b32 s2, 0
	s_mov_b32 s2, 0
	s_cbranch_scc1 .LBB10_2
; %bb.1:
	v_dual_mov_b32 v1, s8 :: v_dual_mov_b32 v2, s9
	v_dual_mov_b32 v4, s6 :: v_dual_mov_b32 v5, s7
	s_load_b64 s[6:7], s[0:1], 0x18
	flat_load_b64 v[2:3], v[1:2]
	flat_load_b64 v[11:12], v[4:5]
	s_waitcnt vmcnt(1) lgkmcnt(0)
	v_add_co_u32 v2, vcc_lo, v2, s6
	v_add_co_ci_u32_e32 v3, vcc_lo, s7, v3, vcc_lo
.LBB10_2:
	s_clause 0x1
	s_load_b32 s3, s[0:1], 0x54
	s_load_b32 s11, s[0:1], 0x48
	s_waitcnt lgkmcnt(0)
	s_and_b32 s10, s3, 0xffff
	s_add_u32 s6, s4, -1
	s_mul_i32 s8, s11, s10
	s_addc_u32 s3, s5, -1
	s_lshl_b32 s9, s8, 2
	s_cmp_lg_u64 s[2:3], 0
	s_cbranch_scc0 .LBB10_27
; %bb.3:
	v_cvt_f32_ubyte0_e32 v1, 0
	v_cvt_f32_u32_e32 v4, s9
	s_sub_u32 s12, 0, s9
	s_subb_u32 s13, 0, 0
	s_delay_alu instid0(VALU_DEP_1) | instskip(NEXT) | instid1(VALU_DEP_1)
	v_fmamk_f32 v1, v1, 0x4f800000, v4
	v_rcp_f32_e32 v1, v1
	s_waitcnt_depctr 0xfff
	v_mul_f32_e32 v1, 0x5f7ffffc, v1
	s_delay_alu instid0(VALU_DEP_1) | instskip(NEXT) | instid1(VALU_DEP_1)
	v_mul_f32_e32 v4, 0x2f800000, v1
	v_trunc_f32_e32 v4, v4
	s_delay_alu instid0(VALU_DEP_1) | instskip(SKIP_1) | instid1(VALU_DEP_2)
	v_fmamk_f32 v1, v4, 0xcf800000, v1
	v_cvt_u32_f32_e32 v4, v4
	v_cvt_u32_f32_e32 v1, v1
	s_delay_alu instid0(VALU_DEP_2) | instskip(NEXT) | instid1(VALU_DEP_2)
	v_readfirstlane_b32 s2, v4
	v_readfirstlane_b32 s7, v1
	s_delay_alu instid0(VALU_DEP_2) | instskip(NEXT) | instid1(VALU_DEP_1)
	s_mul_i32 s14, s12, s2
	s_mul_hi_u32 s17, s12, s7
	s_mul_i32 s16, s13, s7
	s_add_i32 s14, s17, s14
	s_mul_i32 s18, s12, s7
	s_add_i32 s14, s14, s16
	s_mul_hi_u32 s17, s7, s18
	s_mul_hi_u32 s19, s2, s18
	s_mul_i32 s16, s2, s18
	s_mul_hi_u32 s18, s7, s14
	s_mul_i32 s7, s7, s14
	s_mul_hi_u32 s20, s2, s14
	s_add_u32 s7, s17, s7
	s_addc_u32 s17, 0, s18
	s_add_u32 s7, s7, s16
	s_mul_i32 s14, s2, s14
	s_addc_u32 s7, s17, s19
	s_addc_u32 s16, s20, 0
	s_add_u32 s7, s7, s14
	s_addc_u32 s14, 0, s16
	v_add_co_u32 v1, s7, v1, s7
	s_delay_alu instid0(VALU_DEP_1) | instskip(SKIP_1) | instid1(VALU_DEP_1)
	s_cmp_lg_u32 s7, 0
	s_addc_u32 s2, s2, s14
	v_readfirstlane_b32 s7, v1
	s_mul_i32 s14, s12, s2
	s_delay_alu instid0(VALU_DEP_1)
	s_mul_hi_u32 s16, s12, s7
	s_mul_i32 s13, s13, s7
	s_add_i32 s14, s16, s14
	s_mul_i32 s12, s12, s7
	s_add_i32 s14, s14, s13
	s_mul_hi_u32 s16, s2, s12
	s_mul_i32 s17, s2, s12
	s_mul_hi_u32 s12, s7, s12
	s_mul_hi_u32 s18, s7, s14
	s_mul_i32 s7, s7, s14
	s_mul_hi_u32 s13, s2, s14
	s_add_u32 s7, s12, s7
	s_addc_u32 s12, 0, s18
	s_add_u32 s7, s7, s17
	s_mul_i32 s14, s2, s14
	s_addc_u32 s7, s12, s16
	s_addc_u32 s12, s13, 0
	s_add_u32 s7, s7, s14
	s_addc_u32 s12, 0, s12
	v_add_co_u32 v1, s7, v1, s7
	s_delay_alu instid0(VALU_DEP_1) | instskip(SKIP_2) | instid1(VALU_DEP_1)
	s_cmp_lg_u32 s7, 0
	s_addc_u32 s7, s2, s12
	s_ashr_i32 s12, s3, 31
	v_readfirstlane_b32 s14, v1
	s_add_u32 s2, s6, s12
	s_mov_b32 s13, s12
	s_addc_u32 s3, s3, s12
	s_delay_alu instid0(SALU_CYCLE_1) | instskip(NEXT) | instid1(SALU_CYCLE_1)
	s_xor_b64 s[2:3], s[2:3], s[12:13]
	s_mul_i32 s17, s2, s7
	s_mul_hi_u32 s18, s2, s14
	s_mul_hi_u32 s16, s2, s7
	;; [unrolled: 1-line block ×3, first 2 shown]
	s_mul_i32 s14, s3, s14
	s_add_u32 s17, s18, s17
	s_addc_u32 s16, 0, s16
	s_mul_hi_u32 s19, s3, s7
	s_add_u32 s14, s17, s14
	s_mul_i32 s7, s3, s7
	s_addc_u32 s14, s16, s20
	s_addc_u32 s16, s19, 0
	s_add_u32 s7, s14, s7
	s_addc_u32 s14, 0, s16
	s_mul_i32 s17, s9, s7
	s_add_u32 s16, s7, 1
	v_sub_co_u32 v1, s2, s2, s17
	s_mul_hi_u32 s17, s9, s7
	s_addc_u32 s18, s14, 0
	s_mul_i32 s19, s9, s14
	s_delay_alu instid0(VALU_DEP_1)
	v_sub_co_u32 v4, s20, v1, s9
	s_add_u32 s21, s7, 2
	s_addc_u32 s22, s14, 0
	s_add_i32 s17, s17, s19
	s_cmp_lg_u32 s2, 0
	v_readfirstlane_b32 s2, v4
	s_subb_u32 s3, s3, s17
	s_cmp_lg_u32 s20, 0
	s_subb_u32 s17, s3, 0
	s_delay_alu instid0(VALU_DEP_1) | instskip(SKIP_4) | instid1(SALU_CYCLE_1)
	s_cmp_ge_u32 s2, s9
	s_cselect_b32 s2, -1, 0
	s_cmp_eq_u32 s17, 0
	v_readfirstlane_b32 s17, v1
	s_cselect_b32 s2, s2, -1
	s_cmp_lg_u32 s2, 0
	s_cselect_b32 s2, s21, s16
	s_cselect_b32 s16, s22, s18
	s_cmp_ge_u32 s17, s9
	s_cselect_b32 s17, -1, 0
	s_cmp_eq_u32 s3, 0
	s_cselect_b32 s3, s17, -1
	s_delay_alu instid0(SALU_CYCLE_1) | instskip(SKIP_2) | instid1(SALU_CYCLE_1)
	s_cmp_lg_u32 s3, 0
	s_cselect_b32 s3, s16, s14
	s_cselect_b32 s2, s2, s7
	s_xor_b64 s[2:3], s[2:3], s[12:13]
	s_delay_alu instid0(SALU_CYCLE_1)
	s_sub_u32 s2, s2, s12
	s_subb_u32 s3, s3, s12
	s_cbranch_execnz .LBB10_5
.LBB10_4:
	v_cvt_f32_u32_e32 v1, s9
	s_sub_i32 s3, 0, s9
	s_delay_alu instid0(VALU_DEP_1) | instskip(SKIP_2) | instid1(VALU_DEP_1)
	v_rcp_iflag_f32_e32 v1, v1
	s_waitcnt_depctr 0xfff
	v_mul_f32_e32 v1, 0x4f7ffffe, v1
	v_cvt_u32_f32_e32 v1, v1
	s_delay_alu instid0(VALU_DEP_1) | instskip(NEXT) | instid1(VALU_DEP_1)
	v_readfirstlane_b32 s2, v1
	s_mul_i32 s3, s3, s2
	s_delay_alu instid0(SALU_CYCLE_1) | instskip(NEXT) | instid1(SALU_CYCLE_1)
	s_mul_hi_u32 s3, s2, s3
	s_add_i32 s2, s2, s3
	s_delay_alu instid0(SALU_CYCLE_1) | instskip(NEXT) | instid1(SALU_CYCLE_1)
	s_mul_hi_u32 s2, s6, s2
	s_mul_i32 s3, s2, s9
	s_delay_alu instid0(SALU_CYCLE_1)
	s_sub_i32 s3, s6, s3
	s_add_i32 s6, s2, 1
	s_sub_i32 s7, s3, s9
	s_cmp_ge_u32 s3, s9
	s_cselect_b32 s2, s6, s2
	s_cselect_b32 s3, s7, s3
	s_add_i32 s6, s2, 1
	s_cmp_ge_u32 s3, s9
	s_mov_b32 s3, 0
	s_cselect_b32 s2, s6, s2
.LBB10_5:
	v_mov_b32_e32 v1, 0
	s_add_u32 s2, s2, 1
	s_addc_u32 s3, s3, 0
	s_mul_hi_u32 s6, s8, s2
	s_mul_i32 s3, s8, s3
	v_mad_u64_u32 v[13:14], null, s10, s15, v[0:1]
	s_mul_hi_u32 s7, s11, s10
	s_add_i32 s3, s6, s3
	s_mul_i32 s7, s7, s2
	s_mul_i32 s2, s8, s2
	s_add_i32 s3, s3, s7
	s_mov_b32 s6, exec_lo
	s_lshl_b64 s[2:3], s[2:3], 2
	s_delay_alu instid0(SALU_CYCLE_1)
	v_cmpx_gt_i64_e64 s[2:3], v[13:14]
	s_cbranch_execz .LBB10_26
; %bb.6:
	s_load_b64 s[6:7], s[0:1], 0x40
	v_alignbit_b32 v24, v3, v2, 2
	v_lshrrev_b32_e32 v25, 2, v3
	s_mov_b32 s13, 0x3e9b6dac
	s_waitcnt vmcnt(0)
	v_add_co_u32 v23, null, 0x9e3779b9, v11
	v_add_co_u32 v22, null, 0xdaa66d2b, v11
	;; [unrolled: 1-line block ×4, first 2 shown]
	s_mul_i32 s14, s11, 3
	v_add_co_u32 v28, null, 0xb54cda56, v11
	s_add_i32 s14, s15, s14
	v_add_co_u32 v20, null, 0x5384540f, v11
	s_lshl_b32 s16, s11, 1
	v_add_nc_u32_e32 v18, 0x8ff34781, v11
	s_waitcnt lgkmcnt(0)
	v_cvt_f32_f64_e32 v43, s[6:7]
	s_clause 0x1
	s_load_b64 s[6:7], s[0:1], 0x30
	s_load_b32 s12, s[0:1], 0x38
	s_mov_b32 s0, 0
	s_lshl_b32 s1, s8, 1
	v_add_nc_u32_e32 v19, 0x96a522ad, v12
	s_delay_alu instid0(VALU_DEP_2) | instskip(NEXT) | instid1(VALU_DEP_1)
	v_sub_f32_e32 v1, 1.0, v43
	v_cvt_f64_f32_e32 v[4:5], v1
	s_delay_alu instid0(VALU_DEP_1) | instskip(SKIP_1) | instid1(VALU_DEP_1)
	v_frexp_exp_i32_f64_e32 v4, v[4:5]
	v_frexp_mant_f32_e32 v5, v1
	v_cmp_gt_f32_e32 vcc_lo, 0x3f2aaaab, v5
	s_delay_alu instid0(VALU_DEP_3) | instskip(SKIP_2) | instid1(VALU_DEP_3)
	v_subrev_co_ci_u32_e32 v10, vcc_lo, 0, v4, vcc_lo
	v_add_f32_e32 v4, -1.0, v1
	v_cmp_eq_f32_e32 vcc_lo, 0xff800000, v43
	v_sub_nc_u32_e32 v5, 0, v10
	v_cvt_f32_i32_e32 v10, v10
	s_delay_alu instid0(VALU_DEP_4) | instskip(SKIP_1) | instid1(VALU_DEP_3)
	v_sub_f32_e32 v6, v4, v1
	v_sub_f32_e64 v4, -v43, v4
	v_mul_f32_e32 v37, 0x3f317218, v10
	s_delay_alu instid0(VALU_DEP_3) | instskip(SKIP_1) | instid1(VALU_DEP_1)
	v_add_f32_e32 v6, 1.0, v6
	v_ldexp_f32 v1, v1, v5
	v_dual_add_f32 v4, v4, v6 :: v_dual_add_f32 v7, 1.0, v1
	s_delay_alu instid0(VALU_DEP_1) | instskip(NEXT) | instid1(VALU_DEP_2)
	v_ldexp_f32 v4, v4, v5
	v_dual_add_f32 v6, -1.0, v7 :: v_dual_add_f32 v5, -1.0, v1
	s_delay_alu instid0(VALU_DEP_1) | instskip(NEXT) | instid1(VALU_DEP_2)
	v_sub_f32_e32 v6, v1, v6
	v_add_f32_e32 v8, 1.0, v5
	s_delay_alu instid0(VALU_DEP_1) | instskip(NEXT) | instid1(VALU_DEP_1)
	v_sub_f32_e32 v1, v1, v8
	v_add_f32_e32 v1, v4, v1
	s_delay_alu instid0(VALU_DEP_4) | instskip(NEXT) | instid1(VALU_DEP_2)
	v_add_f32_e32 v6, v4, v6
	v_add_f32_e32 v4, v5, v1
	s_delay_alu instid0(VALU_DEP_1) | instskip(NEXT) | instid1(VALU_DEP_1)
	v_sub_f32_e32 v5, v4, v5
	v_dual_sub_f32 v1, v1, v5 :: v_dual_add_f32 v8, v7, v6
	s_delay_alu instid0(VALU_DEP_1) | instskip(SKIP_3) | instid1(VALU_DEP_2)
	v_rcp_f32_e32 v9, v8
	s_waitcnt_depctr 0xfff
	v_mul_f32_e32 v15, v4, v9
	v_sub_f32_e32 v7, v8, v7
	v_mul_f32_e32 v16, v8, v15
	s_delay_alu instid0(VALU_DEP_2) | instskip(NEXT) | instid1(VALU_DEP_2)
	v_sub_f32_e32 v6, v6, v7
	v_fma_f32 v7, v15, v8, -v16
	s_delay_alu instid0(VALU_DEP_1) | instskip(NEXT) | instid1(VALU_DEP_1)
	v_fmac_f32_e32 v7, v15, v6
	v_add_f32_e32 v17, v16, v7
	s_delay_alu instid0(VALU_DEP_1) | instskip(NEXT) | instid1(VALU_DEP_1)
	v_sub_f32_e32 v26, v4, v17
	v_sub_f32_e32 v4, v4, v26
	s_delay_alu instid0(VALU_DEP_1) | instskip(NEXT) | instid1(VALU_DEP_1)
	v_sub_f32_e32 v4, v4, v17
	v_add_f32_e32 v1, v1, v4
	v_sub_f32_e32 v5, v17, v16
	v_and_b32_e32 v17, 3, v2
	s_delay_alu instid0(VALU_DEP_2) | instskip(NEXT) | instid1(VALU_DEP_1)
	v_sub_f32_e32 v5, v5, v7
	v_add_f32_e32 v4, v5, v1
	v_mad_u64_u32 v[1:2], null, 0xcd9e8d57, v13, 0
	s_delay_alu instid0(VALU_DEP_2) | instskip(NEXT) | instid1(VALU_DEP_2)
	v_add_f32_e32 v5, v26, v4
	v_xor3_b32 v2, v11, v2, v25
	s_delay_alu instid0(VALU_DEP_2) | instskip(NEXT) | instid1(VALU_DEP_1)
	v_mul_f32_e32 v7, v9, v5
	v_mul_f32_e32 v16, v8, v7
	v_dual_mov_b32 v38, v12 :: v_dual_sub_f32 v3, v26, v5
	v_add_co_u32 v26, null, 0x3c6ef372, v11
	s_delay_alu instid0(VALU_DEP_3) | instskip(NEXT) | instid1(VALU_DEP_3)
	v_fma_f32 v8, v7, v8, -v16
	v_add_co_u32 v31, null, 0x76cf5d0a, v38
	s_delay_alu instid0(VALU_DEP_4) | instskip(SKIP_1) | instid1(VALU_DEP_4)
	v_add_f32_e32 v29, v4, v3
	v_mad_u64_u32 v[3:4], null, 0xd2511f53, v24, 0
	v_fmac_f32_e32 v8, v7, v6
	v_add_co_u32 v32, null, 0x32370b8f, v38
	v_add_co_u32 v35, null, 0xa9066899, v38
	s_delay_alu instid0(VALU_DEP_3) | instskip(NEXT) | instid1(VALU_DEP_1)
	v_add_f32_e32 v6, v16, v8
	v_sub_f32_e32 v30, v5, v6
	s_delay_alu instid0(VALU_DEP_1) | instskip(NEXT) | instid1(VALU_DEP_1)
	v_dual_sub_f32 v5, v5, v30 :: v_dual_sub_f32 v16, v6, v16
	v_dual_sub_f32 v5, v5, v6 :: v_dual_sub_f32 v6, v16, v8
	v_add_f32_e32 v16, v15, v7
	v_xor_b32_e32 v8, v4, v12
	s_delay_alu instid0(VALU_DEP_3) | instskip(SKIP_1) | instid1(VALU_DEP_3)
	v_add_f32_e32 v5, v29, v5
	v_add_co_u32 v29, null, 0xf1bbcdc8, v11
	v_xor_b32_e32 v8, v8, v14
	s_delay_alu instid0(VALU_DEP_3) | instskip(SKIP_2) | instid1(VALU_DEP_1)
	v_add_f32_e32 v6, v6, v5
	v_mad_u64_u32 v[4:5], null, 0xd2511f53, v2, 0
	v_sub_f32_e32 v2, v16, v15
	v_sub_f32_e32 v7, v7, v2
	s_delay_alu instid0(VALU_DEP_4) | instskip(SKIP_1) | instid1(VALU_DEP_2)
	v_add_f32_e32 v6, v30, v6
	v_add_co_u32 v30, null, 0xbb67ae85, v38
	v_mul_f32_e32 v6, v9, v6
	s_delay_alu instid0(VALU_DEP_2) | instskip(SKIP_1) | instid1(VALU_DEP_3)
	v_xor3_b32 v9, v30, v5, v3
	v_mad_u64_u32 v[2:3], null, 0xcd9e8d57, v8, 0
	v_add_f32_e32 v15, v7, v6
	s_delay_alu instid0(VALU_DEP_3) | instskip(SKIP_1) | instid1(VALU_DEP_3)
	v_mad_u64_u32 v[5:6], null, 0xcd9e8d57, v9, 0
	v_mad_u64_u32 v[7:8], null, s15, s10, v[0:1]
	v_add_f32_e32 v33, v16, v15
	v_xor3_b32 v3, v23, v3, v1
	s_delay_alu instid0(VALU_DEP_4) | instskip(NEXT) | instid1(VALU_DEP_3)
	v_xor3_b32 v6, v26, v6, v2
	v_mul_f32_e32 v34, v33, v33
	s_delay_alu instid0(VALU_DEP_3) | instskip(NEXT) | instid1(VALU_DEP_3)
	v_mad_u64_u32 v[1:2], null, 0xd2511f53, v3, 0
	v_mad_u64_u32 v[8:9], null, 0xd2511f53, v6, 0
	s_delay_alu instid0(VALU_DEP_3)
	v_fmaak_f32 v3, s13, v34, 0x3ecc95a3
	v_mul_f32_e32 v6, v33, v34
	v_sub_f32_e32 v16, v33, v16
	v_xor3_b32 v4, v31, v2, v4
	s_add_i32 s13, s15, s11
	v_fmaak_f32 v3, v34, v3, 0x3f2aaada
	v_ldexp_f32 v34, v33, 1
	v_xor3_b32 v9, v32, v9, v1
	v_mad_u64_u32 v[1:2], null, 0xcd9e8d57, v4, 0
	s_delay_alu instid0(VALU_DEP_4) | instskip(NEXT) | instid1(VALU_DEP_3)
	v_dual_mul_f32 v6, v6, v3 :: v_dual_mov_b32 v33, v13
	v_mad_u64_u32 v[3:4], null, 0xcd9e8d57, v9, 0
	s_delay_alu instid0(VALU_DEP_2) | instskip(SKIP_3) | instid1(VALU_DEP_3)
	v_dual_sub_f32 v9, v15, v16 :: v_dual_add_f32 v36, v34, v6
	v_fma_f32 v16, 0x3f317218, v10, -v37
	v_xor3_b32 v5, v22, v2, v5
	s_add_i32 s15, s15, s16
	v_ldexp_f32 v9, v9, 1
	s_delay_alu instid0(VALU_DEP_3) | instskip(SKIP_3) | instid1(VALU_DEP_2)
	v_dual_sub_f32 v15, v36, v34 :: v_dual_fmamk_f32 v16, v10, 0xb102e308, v16
	v_add_co_u32 v34, null, 0xed9eba14, v38
	s_waitcnt lgkmcnt(0)
	s_mul_i32 s11, s11, s12
	v_dual_sub_f32 v6, v6, v15 :: v_dual_add_f32 v39, v37, v16
	v_xor3_b32 v15, v27, v4, v1
	v_mad_u64_u32 v[1:2], null, 0xd2511f53, v5, 0
	s_delay_alu instid0(VALU_DEP_3) | instskip(NEXT) | instid1(VALU_DEP_3)
	v_dual_add_f32 v6, v9, v6 :: v_dual_sub_f32 v37, v39, v37
	v_mad_u64_u32 v[4:5], null, 0xd2511f53, v15, 0
	s_mul_i32 s11, s11, s10
	s_delay_alu instid0(VALU_DEP_2) | instskip(NEXT) | instid1(VALU_DEP_4)
	v_add_f32_e32 v40, v36, v6
	v_xor3_b32 v2, v34, v2, v8
	v_mad_u64_u32 v[8:9], null, s13, s10, v[0:1]
	s_lshl_b32 s11, s11, 2
	s_delay_alu instid0(VALU_DEP_3) | instskip(SKIP_2) | instid1(VALU_DEP_3)
	v_add_f32_e32 v41, v39, v40
	v_xor3_b32 v5, v35, v5, v1
	v_mad_u64_u32 v[9:10], null, 0xcd9e8d57, v2, 0
	v_sub_f32_e32 v15, v41, v39
	s_delay_alu instid0(VALU_DEP_3) | instskip(NEXT) | instid1(VALU_DEP_2)
	v_mad_u64_u32 v[1:2], null, 0xcd9e8d57, v5, 0
	v_dual_sub_f32 v42, v16, v37 :: v_dual_sub_f32 v5, v41, v15
	s_delay_alu instid0(VALU_DEP_4) | instskip(SKIP_1) | instid1(VALU_DEP_4)
	v_xor3_b32 v3, v21, v10, v3
	v_sub_f32_e32 v10, v40, v15
	v_xor3_b32 v9, v28, v2, v9
	s_delay_alu instid0(VALU_DEP_4) | instskip(NEXT) | instid1(VALU_DEP_1)
	v_dual_sub_f32 v15, v39, v5 :: v_dual_sub_f32 v36, v40, v36
	v_sub_f32_e32 v44, v6, v36
	v_mad_u64_u32 v[5:6], null, 0xd2511f53, v3, 0
	v_add_co_u32 v36, null, 0x646e171e, v38
	s_delay_alu instid0(VALU_DEP_3) | instskip(SKIP_2) | instid1(VALU_DEP_4)
	v_add_f32_e32 v37, v42, v44
	v_add_f32_e32 v3, v10, v15
	v_mad_u64_u32 v[15:16], null, s14, s10, v[0:1]
	v_xor3_b32 v4, v36, v6, v4
	s_delay_alu instid0(VALU_DEP_3) | instskip(SKIP_1) | instid1(VALU_DEP_3)
	v_add_f32_e32 v16, v37, v3
	v_mad_u64_u32 v[2:3], null, 0xd2511f53, v9, 0
	v_mad_u64_u32 v[9:10], null, 0xcd9e8d57, v4, 0
	s_delay_alu instid0(VALU_DEP_3) | instskip(NEXT) | instid1(VALU_DEP_1)
	v_add_f32_e32 v40, v41, v16
	v_dual_sub_f32 v6, v37, v42 :: v_dual_sub_f32 v39, v40, v41
	s_delay_alu instid0(VALU_DEP_1) | instskip(SKIP_2) | instid1(VALU_DEP_4)
	v_sub_f32_e32 v4, v37, v6
	v_add_co_u32 v37, null, 0x1fd5c5a3, v38
	v_sub_f32_e32 v6, v44, v6
	v_sub_f32_e32 v16, v16, v39
	s_delay_alu instid0(VALU_DEP_4) | instskip(NEXT) | instid1(VALU_DEP_4)
	v_sub_f32_e32 v4, v42, v4
	v_xor3_b32 v3, v37, v3, v5
	v_xor3_b32 v10, v20, v10, v1
	v_mad_u64_u32 v[41:42], null, s15, s10, v[0:1]
	s_delay_alu instid0(VALU_DEP_4) | instskip(NEXT) | instid1(VALU_DEP_4)
	v_add_f32_e32 v6, v6, v4
	v_mad_u64_u32 v[0:1], null, 0xcd9e8d57, v3, 0
	s_delay_alu instid0(VALU_DEP_4) | instskip(NEXT) | instid1(VALU_DEP_3)
	v_mad_u64_u32 v[4:5], null, 0xd2511f53, v10, 0
	v_add_f32_e32 v3, v6, v16
	v_add_co_u32 v38, null, 0xdb3d7428, v38
	v_mul_lo_u32 v39, s12, v7
	v_xor3_b32 v1, v29, v1, v9
	s_delay_alu instid0(VALU_DEP_4) | instskip(NEXT) | instid1(VALU_DEP_4)
	v_add_f32_e32 v3, v40, v3
	v_xor3_b32 v7, v38, v5, v2
	v_cmp_gt_f32_e64 s10, 0x33800000, |v43|
	v_mul_lo_u32 v40, s12, v15
	v_mad_u64_u32 v[5:6], null, 0xd2511f53, v1, 0
	v_cndmask_b32_e64 v3, v3, -v43, vcc_lo
	v_cmp_nlt_f32_e32 vcc_lo, 1.0, v43
	v_mad_u64_u32 v[1:2], null, 0xcd9e8d57, v7, 0
	v_mul_lo_u32 v41, s12, v41
	v_mul_lo_u32 v42, s12, v8
	v_cndmask_b32_e32 v3, 0x7fc00000, v3, vcc_lo
	v_cmp_neq_f32_e32 vcc_lo, 1.0, v43
	v_mov_b32_e32 v44, v14
	s_mov_b32 s12, 0
	v_xor3_b32 v0, v2, v0, v18
	v_xor3_b32 v2, v6, v4, v19
	v_cndmask_b32_e32 v7, 0xff800000, v3, vcc_lo
	v_mov_b32_e32 v3, v5
	s_delay_alu instid0(VALU_DEP_2)
	v_cndmask_b32_e64 v43, v7, -v43, s10
	s_mul_i32 s10, s8, 3
	s_branch .LBB10_8
.LBB10_7:                               ;   in Loop: Header=BB10_8 Depth=1
	s_or_b32 exec_lo, exec_lo, s13
	v_add_co_u32 v13, vcc_lo, v13, s9
	v_add_co_ci_u32_e32 v14, vcc_lo, 0, v14, vcc_lo
	v_mov_b32_e32 v7, v15
	v_dual_mov_b32 v0, v4 :: v_dual_mov_b32 v1, v5
	s_delay_alu instid0(VALU_DEP_3) | instskip(NEXT) | instid1(VALU_DEP_3)
	v_cmp_le_i64_e32 vcc_lo, s[2:3], v[13:14]
	v_dual_mov_b32 v2, v6 :: v_dual_mov_b32 v3, v7
	s_add_i32 s12, s12, s11
	s_waitcnt_vscnt null, 0x0
	s_barrier
	s_or_b32 s0, vcc_lo, s0
	buffer_gl0_inv
	s_and_not1_b32 exec_lo, exec_lo, s0
	s_cbranch_execz .LBB10_26
.LBB10_8:                               ; =>This Inner Loop Header: Depth=1
	v_add_co_u32 v24, vcc_lo, v24, 1
	s_delay_alu instid0(VALU_DEP_1) | instskip(SKIP_2) | instid1(VALU_DEP_1)
	v_cndmask_b32_e64 v4, 0, 1, vcc_lo
	v_add_co_ci_u32_e32 v25, vcc_lo, 0, v25, vcc_lo
	s_mov_b32 s13, exec_lo
	v_cmp_eq_u32_e32 vcc_lo, 0, v25
	s_delay_alu instid0(VALU_DEP_3) | instskip(NEXT) | instid1(VALU_DEP_1)
	v_cndmask_b32_e32 v4, 0, v4, vcc_lo
	v_add_nc_u32_e32 v33, v4, v33
	s_delay_alu instid0(VALU_DEP_1) | instskip(SKIP_2) | instid1(VALU_DEP_2)
	v_cmp_eq_u32_e32 vcc_lo, 0, v33
	v_cndmask_b32_e32 v4, 0, v4, vcc_lo
	v_mad_u64_u32 v[6:7], null, 0xcd9e8d57, v33, 0
	v_add_nc_u32_e32 v44, v4, v44
	v_mad_u64_u32 v[4:5], null, 0xd2511f53, v24, 0
	s_delay_alu instid0(VALU_DEP_3) | instskip(NEXT) | instid1(VALU_DEP_2)
	v_xor3_b32 v9, v7, v11, v25
	v_xor_b32_e32 v5, v5, v12
	s_delay_alu instid0(VALU_DEP_2) | instskip(NEXT) | instid1(VALU_DEP_2)
	v_mad_u64_u32 v[7:8], null, 0xd2511f53, v9, 0
	v_xor_b32_e32 v5, v44, v5
	s_delay_alu instid0(VALU_DEP_2) | instskip(NEXT) | instid1(VALU_DEP_2)
	v_xor3_b32 v8, v30, v8, v4
	v_mad_u64_u32 v[9:10], null, 0xcd9e8d57, v5, 0
	s_delay_alu instid0(VALU_DEP_2) | instskip(NEXT) | instid1(VALU_DEP_2)
	v_mad_u64_u32 v[4:5], null, 0xcd9e8d57, v8, 0
	v_xor3_b32 v6, v23, v10, v6
	s_delay_alu instid0(VALU_DEP_2) | instskip(NEXT) | instid1(VALU_DEP_2)
	v_xor3_b32 v8, v26, v5, v9
	v_mad_u64_u32 v[15:16], null, 0xd2511f53, v6, 0
	s_delay_alu instid0(VALU_DEP_2) | instskip(NEXT) | instid1(VALU_DEP_2)
	v_mad_u64_u32 v[5:6], null, 0xd2511f53, v8, 0
	v_xor3_b32 v9, v31, v16, v7
	s_delay_alu instid0(VALU_DEP_2) | instskip(NEXT) | instid1(VALU_DEP_2)
	v_xor3_b32 v6, v32, v6, v15
	v_mad_u64_u32 v[7:8], null, 0xcd9e8d57, v9, 0
	s_delay_alu instid0(VALU_DEP_1) | instskip(NEXT) | instid1(VALU_DEP_3)
	v_xor3_b32 v4, v22, v8, v4
	v_mad_u64_u32 v[8:9], null, 0xcd9e8d57, v6, 0
	s_delay_alu instid0(VALU_DEP_2) | instskip(NEXT) | instid1(VALU_DEP_2)
	v_mad_u64_u32 v[15:16], null, 0xd2511f53, v4, 0
	v_xor3_b32 v6, v27, v9, v7
	s_delay_alu instid0(VALU_DEP_2) | instskip(NEXT) | instid1(VALU_DEP_2)
	v_xor3_b32 v9, v34, v16, v5
	v_mad_u64_u32 v[4:5], null, 0xd2511f53, v6, 0
	s_delay_alu instid0(VALU_DEP_2) | instskip(NEXT) | instid1(VALU_DEP_2)
	v_mad_u64_u32 v[6:7], null, 0xcd9e8d57, v9, 0
	v_xor3_b32 v5, v35, v5, v15
	s_delay_alu instid0(VALU_DEP_2) | instskip(NEXT) | instid1(VALU_DEP_2)
	v_xor3_b32 v15, v21, v7, v8
	v_mad_u64_u32 v[7:8], null, 0xcd9e8d57, v5, 0
	s_delay_alu instid0(VALU_DEP_2) | instskip(NEXT) | instid1(VALU_DEP_2)
	v_mad_u64_u32 v[9:10], null, 0xd2511f53, v15, 0
	v_xor3_b32 v6, v28, v8, v6
	s_delay_alu instid0(VALU_DEP_2) | instskip(NEXT) | instid1(VALU_DEP_2)
	v_xor3_b32 v8, v36, v10, v4
	v_mad_u64_u32 v[4:5], null, 0xd2511f53, v6, 0
	s_delay_alu instid0(VALU_DEP_2) | instskip(NEXT) | instid1(VALU_DEP_2)
	v_mad_u64_u32 v[15:16], null, 0xcd9e8d57, v8, 0
	v_xor3_b32 v5, v37, v5, v9
	s_delay_alu instid0(VALU_DEP_2) | instskip(NEXT) | instid1(VALU_DEP_2)
	v_xor3_b32 v6, v20, v16, v7
	v_mad_u64_u32 v[7:8], null, 0xcd9e8d57, v5, 0
	s_delay_alu instid0(VALU_DEP_2) | instskip(NEXT) | instid1(VALU_DEP_2)
	v_mad_u64_u32 v[9:10], null, 0xd2511f53, v6, 0
	v_xor3_b32 v5, v29, v8, v15
	s_delay_alu instid0(VALU_DEP_2) | instskip(NEXT) | instid1(VALU_DEP_2)
	v_xor3_b32 v4, v38, v10, v4
	v_mad_u64_u32 v[15:16], null, 0xd2511f53, v5, 0
	s_delay_alu instid0(VALU_DEP_2) | instskip(NEXT) | instid1(VALU_DEP_2)
	v_mad_u64_u32 v[5:6], null, 0xcd9e8d57, v4, 0
	v_xor3_b32 v10, v16, v9, v19
	s_delay_alu instid0(VALU_DEP_2) | instskip(NEXT) | instid1(VALU_DEP_2)
	v_xor3_b32 v4, v6, v7, v18
	v_mov_b32_e32 v6, v10
	v_cmpx_lt_i32_e32 1, v17
	s_xor_b32 s13, exec_lo, s13
	s_cbranch_execnz .LBB10_18
; %bb.9:                                ;   in Loop: Header=BB10_8 Depth=1
	s_and_not1_saveexec_b32 s13, s13
	s_cbranch_execnz .LBB10_23
.LBB10_10:                              ;   in Loop: Header=BB10_8 Depth=1
	s_or_b32 exec_lo, exec_lo, s13
	s_delay_alu instid0(SALU_CYCLE_1)
	s_mov_b32 s13, exec_lo
	v_cmpx_gt_i64_e64 s[4:5], v[13:14]
	s_cbranch_execz .LBB10_12
.LBB10_11:                              ;   in Loop: Header=BB10_8 Depth=1
	v_cvt_f32_u32_e32 v0, v0
	s_delay_alu instid0(VALU_DEP_1) | instskip(NEXT) | instid1(VALU_DEP_1)
	v_fmaak_f32 v0, 0x2f800000, v0, 0x2f800000
	v_cmp_gt_f32_e32 vcc_lo, 0x800000, v0
	v_cndmask_b32_e64 v7, 1.0, 0x4f800000, vcc_lo
	s_delay_alu instid0(VALU_DEP_1) | instskip(NEXT) | instid1(VALU_DEP_1)
	v_mul_f32_e32 v0, v0, v7
	v_log_f32_e32 v0, v0
	s_waitcnt_depctr 0xfff
	v_mul_f32_e32 v7, 0x3f317217, v0
	s_delay_alu instid0(VALU_DEP_1) | instskip(NEXT) | instid1(VALU_DEP_1)
	v_fma_f32 v8, 0x3f317217, v0, -v7
	v_fmac_f32_e32 v8, 0x3377d1cf, v0
	s_delay_alu instid0(VALU_DEP_1) | instskip(SKIP_2) | instid1(VALU_DEP_3)
	v_add_f32_e32 v7, v7, v8
	v_cndmask_b32_e64 v8, 0, 0x41b17218, vcc_lo
	v_cmp_gt_f32_e64 vcc_lo, 0x7f800000, |v0|
	v_cndmask_b32_e32 v0, v0, v7, vcc_lo
	s_delay_alu instid0(VALU_DEP_1) | instskip(NEXT) | instid1(VALU_DEP_1)
	v_sub_f32_e32 v0, v0, v8
	v_div_scale_f32 v7, null, v43, v43, v0
	s_delay_alu instid0(VALU_DEP_1) | instskip(SKIP_2) | instid1(VALU_DEP_1)
	v_rcp_f32_e32 v8, v7
	s_waitcnt_depctr 0xfff
	v_fma_f32 v9, -v7, v8, 1.0
	v_fmac_f32_e32 v8, v9, v8
	v_div_scale_f32 v9, vcc_lo, v0, v43, v0
	s_delay_alu instid0(VALU_DEP_1) | instskip(NEXT) | instid1(VALU_DEP_1)
	v_mul_f32_e32 v10, v9, v8
	v_fma_f32 v16, -v7, v10, v9
	s_delay_alu instid0(VALU_DEP_1) | instskip(NEXT) | instid1(VALU_DEP_1)
	v_fmac_f32_e32 v10, v16, v8
	v_fma_f32 v7, -v7, v10, v9
	s_delay_alu instid0(VALU_DEP_1) | instskip(SKIP_1) | instid1(VALU_DEP_2)
	v_div_fmas_f32 v7, v7, v8, v10
	v_add_nc_u32_e32 v8, s12, v39
	v_div_fixup_f32 v0, v7, v43, v0
	s_delay_alu instid0(VALU_DEP_2) | instskip(SKIP_1) | instid1(VALU_DEP_3)
	v_ashrrev_i32_e32 v9, 31, v8
	v_add_co_u32 v7, vcc_lo, s6, v8
	v_ceil_f32_e32 v0, v0
	s_delay_alu instid0(VALU_DEP_3) | instskip(NEXT) | instid1(VALU_DEP_2)
	v_add_co_ci_u32_e32 v8, vcc_lo, s7, v9, vcc_lo
	v_cvt_i32_f32_e32 v0, v0
	global_store_b32 v[7:8], v0, off
.LBB10_12:                              ;   in Loop: Header=BB10_8 Depth=1
	s_or_b32 exec_lo, exec_lo, s13
	v_add_co_u32 v7, vcc_lo, s8, v13
	v_add_co_ci_u32_e32 v8, vcc_lo, 0, v14, vcc_lo
	s_mov_b32 s13, exec_lo
	s_delay_alu instid0(VALU_DEP_1)
	v_cmpx_gt_i64_e64 s[4:5], v[7:8]
	s_cbranch_execz .LBB10_14
; %bb.13:                               ;   in Loop: Header=BB10_8 Depth=1
	v_cvt_f32_u32_e32 v0, v1
	s_delay_alu instid0(VALU_DEP_1) | instskip(NEXT) | instid1(VALU_DEP_1)
	v_fmaak_f32 v0, 0x2f800000, v0, 0x2f800000
	v_cmp_gt_f32_e32 vcc_lo, 0x800000, v0
	v_cndmask_b32_e64 v1, 1.0, 0x4f800000, vcc_lo
	s_delay_alu instid0(VALU_DEP_1) | instskip(NEXT) | instid1(VALU_DEP_1)
	v_mul_f32_e32 v0, v0, v1
	v_log_f32_e32 v0, v0
	s_waitcnt_depctr 0xfff
	v_mul_f32_e32 v1, 0x3f317217, v0
	s_delay_alu instid0(VALU_DEP_1) | instskip(NEXT) | instid1(VALU_DEP_1)
	v_fma_f32 v7, 0x3f317217, v0, -v1
	v_fmac_f32_e32 v7, 0x3377d1cf, v0
	s_delay_alu instid0(VALU_DEP_1) | instskip(SKIP_2) | instid1(VALU_DEP_3)
	v_add_f32_e32 v1, v1, v7
	v_cndmask_b32_e64 v7, 0, 0x41b17218, vcc_lo
	v_cmp_gt_f32_e64 vcc_lo, 0x7f800000, |v0|
	v_cndmask_b32_e32 v0, v0, v1, vcc_lo
	s_delay_alu instid0(VALU_DEP_1) | instskip(NEXT) | instid1(VALU_DEP_1)
	v_sub_f32_e32 v0, v0, v7
	v_div_scale_f32 v1, null, v43, v43, v0
	s_delay_alu instid0(VALU_DEP_1) | instskip(SKIP_2) | instid1(VALU_DEP_1)
	v_rcp_f32_e32 v7, v1
	s_waitcnt_depctr 0xfff
	v_fma_f32 v8, -v1, v7, 1.0
	v_fmac_f32_e32 v7, v8, v7
	v_div_scale_f32 v8, vcc_lo, v0, v43, v0
	s_delay_alu instid0(VALU_DEP_1) | instskip(NEXT) | instid1(VALU_DEP_1)
	v_mul_f32_e32 v9, v8, v7
	v_fma_f32 v10, -v1, v9, v8
	s_delay_alu instid0(VALU_DEP_1) | instskip(NEXT) | instid1(VALU_DEP_1)
	v_fmac_f32_e32 v9, v10, v7
	v_fma_f32 v1, -v1, v9, v8
	s_delay_alu instid0(VALU_DEP_1) | instskip(SKIP_1) | instid1(VALU_DEP_2)
	v_div_fmas_f32 v1, v1, v7, v9
	v_add_nc_u32_e32 v7, s12, v42
	v_div_fixup_f32 v0, v1, v43, v0
	s_delay_alu instid0(VALU_DEP_2) | instskip(NEXT) | instid1(VALU_DEP_2)
	v_ashrrev_i32_e32 v1, 31, v7
	v_ceil_f32_e32 v8, v0
	v_add_co_u32 v0, vcc_lo, s6, v7
	s_delay_alu instid0(VALU_DEP_3) | instskip(NEXT) | instid1(VALU_DEP_3)
	v_add_co_ci_u32_e32 v1, vcc_lo, s7, v1, vcc_lo
	v_cvt_i32_f32_e32 v7, v8
	global_store_b32 v[0:1], v7, off
.LBB10_14:                              ;   in Loop: Header=BB10_8 Depth=1
	s_or_b32 exec_lo, exec_lo, s13
	v_add_co_u32 v0, vcc_lo, s1, v13
	v_add_co_ci_u32_e32 v1, vcc_lo, 0, v14, vcc_lo
	s_mov_b32 s13, exec_lo
	s_delay_alu instid0(VALU_DEP_1)
	v_cmpx_gt_i64_e64 s[4:5], v[0:1]
	s_cbranch_execz .LBB10_16
; %bb.15:                               ;   in Loop: Header=BB10_8 Depth=1
	v_cvt_f32_u32_e32 v0, v2
	s_delay_alu instid0(VALU_DEP_1) | instskip(NEXT) | instid1(VALU_DEP_1)
	v_fmaak_f32 v0, 0x2f800000, v0, 0x2f800000
	v_cmp_gt_f32_e32 vcc_lo, 0x800000, v0
	v_cndmask_b32_e64 v1, 1.0, 0x4f800000, vcc_lo
	s_delay_alu instid0(VALU_DEP_1) | instskip(NEXT) | instid1(VALU_DEP_1)
	v_mul_f32_e32 v0, v0, v1
	v_log_f32_e32 v0, v0
	s_waitcnt_depctr 0xfff
	v_mul_f32_e32 v1, 0x3f317217, v0
	s_delay_alu instid0(VALU_DEP_1) | instskip(NEXT) | instid1(VALU_DEP_1)
	v_fma_f32 v2, 0x3f317217, v0, -v1
	v_fmac_f32_e32 v2, 0x3377d1cf, v0
	s_delay_alu instid0(VALU_DEP_1) | instskip(SKIP_2) | instid1(VALU_DEP_3)
	v_add_f32_e32 v1, v1, v2
	v_cndmask_b32_e64 v2, 0, 0x41b17218, vcc_lo
	v_cmp_gt_f32_e64 vcc_lo, 0x7f800000, |v0|
	v_cndmask_b32_e32 v0, v0, v1, vcc_lo
	s_delay_alu instid0(VALU_DEP_1) | instskip(NEXT) | instid1(VALU_DEP_1)
	v_sub_f32_e32 v0, v0, v2
	v_div_scale_f32 v1, null, v43, v43, v0
	s_delay_alu instid0(VALU_DEP_1) | instskip(SKIP_2) | instid1(VALU_DEP_1)
	v_rcp_f32_e32 v2, v1
	s_waitcnt_depctr 0xfff
	v_fma_f32 v7, -v1, v2, 1.0
	v_fmac_f32_e32 v2, v7, v2
	v_div_scale_f32 v7, vcc_lo, v0, v43, v0
	s_delay_alu instid0(VALU_DEP_1) | instskip(NEXT) | instid1(VALU_DEP_1)
	v_mul_f32_e32 v8, v7, v2
	v_fma_f32 v9, -v1, v8, v7
	s_delay_alu instid0(VALU_DEP_1) | instskip(NEXT) | instid1(VALU_DEP_1)
	v_fmac_f32_e32 v8, v9, v2
	v_fma_f32 v1, -v1, v8, v7
	s_delay_alu instid0(VALU_DEP_1) | instskip(SKIP_1) | instid1(VALU_DEP_2)
	v_div_fmas_f32 v1, v1, v2, v8
	v_add_nc_u32_e32 v2, s12, v41
	v_div_fixup_f32 v0, v1, v43, v0
	s_delay_alu instid0(VALU_DEP_2) | instskip(NEXT) | instid1(VALU_DEP_2)
	v_ashrrev_i32_e32 v1, 31, v2
	v_ceil_f32_e32 v7, v0
	v_add_co_u32 v0, vcc_lo, s6, v2
	s_delay_alu instid0(VALU_DEP_3) | instskip(NEXT) | instid1(VALU_DEP_3)
	v_add_co_ci_u32_e32 v1, vcc_lo, s7, v1, vcc_lo
	v_cvt_i32_f32_e32 v2, v7
	global_store_b32 v[0:1], v2, off
.LBB10_16:                              ;   in Loop: Header=BB10_8 Depth=1
	s_or_b32 exec_lo, exec_lo, s13
	v_add_co_u32 v0, vcc_lo, s10, v13
	v_add_co_ci_u32_e32 v1, vcc_lo, 0, v14, vcc_lo
	s_mov_b32 s13, exec_lo
	s_delay_alu instid0(VALU_DEP_1)
	v_cmpx_gt_i64_e64 s[4:5], v[0:1]
	s_cbranch_execz .LBB10_7
; %bb.17:                               ;   in Loop: Header=BB10_8 Depth=1
	v_cvt_f32_u32_e32 v0, v3
	s_delay_alu instid0(VALU_DEP_1) | instskip(NEXT) | instid1(VALU_DEP_1)
	v_fmaak_f32 v0, 0x2f800000, v0, 0x2f800000
	v_cmp_gt_f32_e32 vcc_lo, 0x800000, v0
	v_cndmask_b32_e64 v1, 1.0, 0x4f800000, vcc_lo
	s_delay_alu instid0(VALU_DEP_1) | instskip(NEXT) | instid1(VALU_DEP_1)
	v_mul_f32_e32 v0, v0, v1
	v_log_f32_e32 v0, v0
	s_waitcnt_depctr 0xfff
	v_mul_f32_e32 v1, 0x3f317217, v0
	s_delay_alu instid0(VALU_DEP_1) | instskip(NEXT) | instid1(VALU_DEP_1)
	v_fma_f32 v2, 0x3f317217, v0, -v1
	v_fmac_f32_e32 v2, 0x3377d1cf, v0
	s_delay_alu instid0(VALU_DEP_1) | instskip(SKIP_2) | instid1(VALU_DEP_3)
	v_add_f32_e32 v1, v1, v2
	v_cndmask_b32_e64 v2, 0, 0x41b17218, vcc_lo
	v_cmp_gt_f32_e64 vcc_lo, 0x7f800000, |v0|
	v_cndmask_b32_e32 v0, v0, v1, vcc_lo
	s_delay_alu instid0(VALU_DEP_1) | instskip(NEXT) | instid1(VALU_DEP_1)
	v_sub_f32_e32 v0, v0, v2
	v_div_scale_f32 v1, null, v43, v43, v0
	s_delay_alu instid0(VALU_DEP_1) | instskip(SKIP_2) | instid1(VALU_DEP_1)
	v_rcp_f32_e32 v2, v1
	s_waitcnt_depctr 0xfff
	v_fma_f32 v3, -v1, v2, 1.0
	v_fmac_f32_e32 v2, v3, v2
	v_div_scale_f32 v3, vcc_lo, v0, v43, v0
	s_delay_alu instid0(VALU_DEP_1) | instskip(NEXT) | instid1(VALU_DEP_1)
	v_mul_f32_e32 v7, v3, v2
	v_fma_f32 v8, -v1, v7, v3
	s_delay_alu instid0(VALU_DEP_1) | instskip(NEXT) | instid1(VALU_DEP_1)
	v_fmac_f32_e32 v7, v8, v2
	v_fma_f32 v1, -v1, v7, v3
	s_delay_alu instid0(VALU_DEP_1) | instskip(SKIP_1) | instid1(VALU_DEP_2)
	v_div_fmas_f32 v1, v1, v2, v7
	v_add_nc_u32_e32 v2, s12, v40
	v_div_fixup_f32 v0, v1, v43, v0
	s_delay_alu instid0(VALU_DEP_2) | instskip(NEXT) | instid1(VALU_DEP_2)
	v_ashrrev_i32_e32 v1, 31, v2
	v_ceil_f32_e32 v3, v0
	v_add_co_u32 v0, vcc_lo, s6, v2
	s_delay_alu instid0(VALU_DEP_3) | instskip(NEXT) | instid1(VALU_DEP_3)
	v_add_co_ci_u32_e32 v1, vcc_lo, s7, v1, vcc_lo
	v_cvt_i32_f32_e32 v2, v3
	global_store_b32 v[0:1], v2, off
	s_branch .LBB10_7
.LBB10_18:                              ;   in Loop: Header=BB10_8 Depth=1
	s_mov_b32 s14, exec_lo
	v_cmpx_lt_i32_e32 2, v17
	s_xor_b32 s14, exec_lo, s14
; %bb.19:                               ;   in Loop: Header=BB10_8 Depth=1
	v_dual_mov_b32 v7, v3 :: v_dual_mov_b32 v8, v4
	v_mov_b32_e32 v9, v5
	s_delay_alu instid0(VALU_DEP_2) | instskip(NEXT) | instid1(VALU_DEP_2)
	v_dual_mov_b32 v0, v7 :: v_dual_mov_b32 v1, v8
	v_dual_mov_b32 v2, v9 :: v_dual_mov_b32 v3, v10
; %bb.20:                               ;   in Loop: Header=BB10_8 Depth=1
	s_and_not1_saveexec_b32 s14, s14
; %bb.21:                               ;   in Loop: Header=BB10_8 Depth=1
	s_delay_alu instid0(VALU_DEP_1)
	v_dual_mov_b32 v0, v2 :: v_dual_mov_b32 v1, v3
	v_dual_mov_b32 v2, v4 :: v_dual_mov_b32 v3, v5
; %bb.22:                               ;   in Loop: Header=BB10_8 Depth=1
	s_or_b32 exec_lo, exec_lo, s14
	s_and_not1_saveexec_b32 s13, s13
	s_cbranch_execz .LBB10_10
.LBB10_23:                              ;   in Loop: Header=BB10_8 Depth=1
	s_mov_b32 s14, exec_lo
	v_cmpx_eq_u32_e32 1, v17
; %bb.24:                               ;   in Loop: Header=BB10_8 Depth=1
	v_dual_mov_b32 v0, v1 :: v_dual_mov_b32 v1, v2
	v_dual_mov_b32 v2, v3 :: v_dual_mov_b32 v3, v4
; %bb.25:                               ;   in Loop: Header=BB10_8 Depth=1
	s_or_b32 exec_lo, exec_lo, s14
	s_delay_alu instid0(SALU_CYCLE_1) | instskip(NEXT) | instid1(SALU_CYCLE_1)
	s_or_b32 exec_lo, exec_lo, s13
	s_mov_b32 s13, exec_lo
	v_cmpx_gt_i64_e64 s[4:5], v[13:14]
	s_cbranch_execnz .LBB10_11
	s_branch .LBB10_12
.LBB10_26:
	s_endpgm
.LBB10_27:
                                        ; implicit-def: $sgpr2_sgpr3
	s_branch .LBB10_4
	.section	.rodata,"a",@progbits
	.p2align	6, 0x0
	.amdhsa_kernel _ZN2at6native12_GLOBAL__N_143distribution_elementwise_grid_stride_kernelIfLi4EZNS0_9templates4cuda21uniform_and_transformIifPNS_17CUDAGeneratorImplEZZZNS4_16geometric_kernelIS7_EEvRNS_18TensorIteratorBaseEdT_ENKUlvE_clEvENKUlvE1_clEvEUlfE_EEvSA_T1_T2_EUlP25hiprandStatePhilox4_32_10E0_ZNS1_27distribution_nullary_kernelIif15HIP_vector_typeIfLj4EES7_SJ_SE_EEvSA_SG_RKT3_T4_EUlifE_EEvlNS_15PhiloxCudaStateESF_SG_
		.amdhsa_group_segment_fixed_size 0
		.amdhsa_private_segment_fixed_size 0
		.amdhsa_kernarg_size 328
		.amdhsa_user_sgpr_count 15
		.amdhsa_user_sgpr_dispatch_ptr 0
		.amdhsa_user_sgpr_queue_ptr 0
		.amdhsa_user_sgpr_kernarg_segment_ptr 1
		.amdhsa_user_sgpr_dispatch_id 0
		.amdhsa_user_sgpr_private_segment_size 0
		.amdhsa_wavefront_size32 1
		.amdhsa_uses_dynamic_stack 0
		.amdhsa_enable_private_segment 0
		.amdhsa_system_sgpr_workgroup_id_x 1
		.amdhsa_system_sgpr_workgroup_id_y 0
		.amdhsa_system_sgpr_workgroup_id_z 0
		.amdhsa_system_sgpr_workgroup_info 0
		.amdhsa_system_vgpr_workitem_id 0
		.amdhsa_next_free_vgpr 45
		.amdhsa_next_free_sgpr 23
		.amdhsa_reserve_vcc 1
		.amdhsa_float_round_mode_32 0
		.amdhsa_float_round_mode_16_64 0
		.amdhsa_float_denorm_mode_32 3
		.amdhsa_float_denorm_mode_16_64 3
		.amdhsa_dx10_clamp 1
		.amdhsa_ieee_mode 1
		.amdhsa_fp16_overflow 0
		.amdhsa_workgroup_processor_mode 1
		.amdhsa_memory_ordered 1
		.amdhsa_forward_progress 0
		.amdhsa_shared_vgpr_count 0
		.amdhsa_exception_fp_ieee_invalid_op 0
		.amdhsa_exception_fp_denorm_src 0
		.amdhsa_exception_fp_ieee_div_zero 0
		.amdhsa_exception_fp_ieee_overflow 0
		.amdhsa_exception_fp_ieee_underflow 0
		.amdhsa_exception_fp_ieee_inexact 0
		.amdhsa_exception_int_div_zero 0
	.end_amdhsa_kernel
	.section	.text._ZN2at6native12_GLOBAL__N_143distribution_elementwise_grid_stride_kernelIfLi4EZNS0_9templates4cuda21uniform_and_transformIifPNS_17CUDAGeneratorImplEZZZNS4_16geometric_kernelIS7_EEvRNS_18TensorIteratorBaseEdT_ENKUlvE_clEvENKUlvE1_clEvEUlfE_EEvSA_T1_T2_EUlP25hiprandStatePhilox4_32_10E0_ZNS1_27distribution_nullary_kernelIif15HIP_vector_typeIfLj4EES7_SJ_SE_EEvSA_SG_RKT3_T4_EUlifE_EEvlNS_15PhiloxCudaStateESF_SG_,"axG",@progbits,_ZN2at6native12_GLOBAL__N_143distribution_elementwise_grid_stride_kernelIfLi4EZNS0_9templates4cuda21uniform_and_transformIifPNS_17CUDAGeneratorImplEZZZNS4_16geometric_kernelIS7_EEvRNS_18TensorIteratorBaseEdT_ENKUlvE_clEvENKUlvE1_clEvEUlfE_EEvSA_T1_T2_EUlP25hiprandStatePhilox4_32_10E0_ZNS1_27distribution_nullary_kernelIif15HIP_vector_typeIfLj4EES7_SJ_SE_EEvSA_SG_RKT3_T4_EUlifE_EEvlNS_15PhiloxCudaStateESF_SG_,comdat
.Lfunc_end10:
	.size	_ZN2at6native12_GLOBAL__N_143distribution_elementwise_grid_stride_kernelIfLi4EZNS0_9templates4cuda21uniform_and_transformIifPNS_17CUDAGeneratorImplEZZZNS4_16geometric_kernelIS7_EEvRNS_18TensorIteratorBaseEdT_ENKUlvE_clEvENKUlvE1_clEvEUlfE_EEvSA_T1_T2_EUlP25hiprandStatePhilox4_32_10E0_ZNS1_27distribution_nullary_kernelIif15HIP_vector_typeIfLj4EES7_SJ_SE_EEvSA_SG_RKT3_T4_EUlifE_EEvlNS_15PhiloxCudaStateESF_SG_, .Lfunc_end10-_ZN2at6native12_GLOBAL__N_143distribution_elementwise_grid_stride_kernelIfLi4EZNS0_9templates4cuda21uniform_and_transformIifPNS_17CUDAGeneratorImplEZZZNS4_16geometric_kernelIS7_EEvRNS_18TensorIteratorBaseEdT_ENKUlvE_clEvENKUlvE1_clEvEUlfE_EEvSA_T1_T2_EUlP25hiprandStatePhilox4_32_10E0_ZNS1_27distribution_nullary_kernelIif15HIP_vector_typeIfLj4EES7_SJ_SE_EEvSA_SG_RKT3_T4_EUlifE_EEvlNS_15PhiloxCudaStateESF_SG_
                                        ; -- End function
	.section	.AMDGPU.csdata,"",@progbits
; Kernel info:
; codeLenInByte = 4416
; NumSgprs: 25
; NumVgprs: 45
; ScratchSize: 0
; MemoryBound: 0
; FloatMode: 240
; IeeeMode: 1
; LDSByteSize: 0 bytes/workgroup (compile time only)
; SGPRBlocks: 3
; VGPRBlocks: 5
; NumSGPRsForWavesPerEU: 25
; NumVGPRsForWavesPerEU: 45
; Occupancy: 16
; WaveLimiterHint : 0
; COMPUTE_PGM_RSRC2:SCRATCH_EN: 0
; COMPUTE_PGM_RSRC2:USER_SGPR: 15
; COMPUTE_PGM_RSRC2:TRAP_HANDLER: 0
; COMPUTE_PGM_RSRC2:TGID_X_EN: 1
; COMPUTE_PGM_RSRC2:TGID_Y_EN: 0
; COMPUTE_PGM_RSRC2:TGID_Z_EN: 0
; COMPUTE_PGM_RSRC2:TIDIG_COMP_CNT: 0
	.section	.text._ZN2at6native12_GLOBAL__N_143distribution_elementwise_grid_stride_kernelIfLi4EZNS0_9templates4cuda21uniform_and_transformIifPNS_17CUDAGeneratorImplEZZZNS4_16geometric_kernelIS7_EEvRNS_18TensorIteratorBaseEdT_ENKUlvE_clEvENKUlvE1_clEvEUlfE_EEvSA_T1_T2_EUlP25hiprandStatePhilox4_32_10E0_ZNS1_27distribution_nullary_kernelIif15HIP_vector_typeIfLj4EES7_SJ_SE_EEvSA_SG_RKT3_T4_EUlifE0_EEvlNS_15PhiloxCudaStateESF_SG_,"axG",@progbits,_ZN2at6native12_GLOBAL__N_143distribution_elementwise_grid_stride_kernelIfLi4EZNS0_9templates4cuda21uniform_and_transformIifPNS_17CUDAGeneratorImplEZZZNS4_16geometric_kernelIS7_EEvRNS_18TensorIteratorBaseEdT_ENKUlvE_clEvENKUlvE1_clEvEUlfE_EEvSA_T1_T2_EUlP25hiprandStatePhilox4_32_10E0_ZNS1_27distribution_nullary_kernelIif15HIP_vector_typeIfLj4EES7_SJ_SE_EEvSA_SG_RKT3_T4_EUlifE0_EEvlNS_15PhiloxCudaStateESF_SG_,comdat
	.globl	_ZN2at6native12_GLOBAL__N_143distribution_elementwise_grid_stride_kernelIfLi4EZNS0_9templates4cuda21uniform_and_transformIifPNS_17CUDAGeneratorImplEZZZNS4_16geometric_kernelIS7_EEvRNS_18TensorIteratorBaseEdT_ENKUlvE_clEvENKUlvE1_clEvEUlfE_EEvSA_T1_T2_EUlP25hiprandStatePhilox4_32_10E0_ZNS1_27distribution_nullary_kernelIif15HIP_vector_typeIfLj4EES7_SJ_SE_EEvSA_SG_RKT3_T4_EUlifE0_EEvlNS_15PhiloxCudaStateESF_SG_ ; -- Begin function _ZN2at6native12_GLOBAL__N_143distribution_elementwise_grid_stride_kernelIfLi4EZNS0_9templates4cuda21uniform_and_transformIifPNS_17CUDAGeneratorImplEZZZNS4_16geometric_kernelIS7_EEvRNS_18TensorIteratorBaseEdT_ENKUlvE_clEvENKUlvE1_clEvEUlfE_EEvSA_T1_T2_EUlP25hiprandStatePhilox4_32_10E0_ZNS1_27distribution_nullary_kernelIif15HIP_vector_typeIfLj4EES7_SJ_SE_EEvSA_SG_RKT3_T4_EUlifE0_EEvlNS_15PhiloxCudaStateESF_SG_
	.p2align	8
	.type	_ZN2at6native12_GLOBAL__N_143distribution_elementwise_grid_stride_kernelIfLi4EZNS0_9templates4cuda21uniform_and_transformIifPNS_17CUDAGeneratorImplEZZZNS4_16geometric_kernelIS7_EEvRNS_18TensorIteratorBaseEdT_ENKUlvE_clEvENKUlvE1_clEvEUlfE_EEvSA_T1_T2_EUlP25hiprandStatePhilox4_32_10E0_ZNS1_27distribution_nullary_kernelIif15HIP_vector_typeIfLj4EES7_SJ_SE_EEvSA_SG_RKT3_T4_EUlifE0_EEvlNS_15PhiloxCudaStateESF_SG_,@function
_ZN2at6native12_GLOBAL__N_143distribution_elementwise_grid_stride_kernelIfLi4EZNS0_9templates4cuda21uniform_and_transformIifPNS_17CUDAGeneratorImplEZZZNS4_16geometric_kernelIS7_EEvRNS_18TensorIteratorBaseEdT_ENKUlvE_clEvENKUlvE1_clEvEUlfE_EEvSA_T1_T2_EUlP25hiprandStatePhilox4_32_10E0_ZNS1_27distribution_nullary_kernelIif15HIP_vector_typeIfLj4EES7_SJ_SE_EEvSA_SG_RKT3_T4_EUlifE0_EEvlNS_15PhiloxCudaStateESF_SG_: ; @_ZN2at6native12_GLOBAL__N_143distribution_elementwise_grid_stride_kernelIfLi4EZNS0_9templates4cuda21uniform_and_transformIifPNS_17CUDAGeneratorImplEZZZNS4_16geometric_kernelIS7_EEvRNS_18TensorIteratorBaseEdT_ENKUlvE_clEvENKUlvE1_clEvEUlfE_EEvSA_T1_T2_EUlP25hiprandStatePhilox4_32_10E0_ZNS1_27distribution_nullary_kernelIif15HIP_vector_typeIfLj4EES7_SJ_SE_EEvSA_SG_RKT3_T4_EUlifE0_EEvlNS_15PhiloxCudaStateESF_SG_
; %bb.0:
	s_clause 0x2
	s_load_b64 s[4:5], s[0:1], 0x10
	s_load_b128 s[16:19], s[0:1], 0x0
	s_load_b32 s2, s[0:1], 0x20
	s_waitcnt lgkmcnt(0)
	v_dual_mov_b32 v2, s4 :: v_dual_mov_b32 v3, s5
	v_dual_mov_b32 v11, s18 :: v_dual_mov_b32 v12, s19
	s_bitcmp0_b32 s2, 0
	s_mov_b32 s2, 0
	s_cbranch_scc1 .LBB11_2
; %bb.1:
	v_dual_mov_b32 v1, s4 :: v_dual_mov_b32 v2, s5
	v_dual_mov_b32 v4, s18 :: v_dual_mov_b32 v5, s19
	s_load_b64 s[4:5], s[0:1], 0x18
	flat_load_b64 v[2:3], v[1:2]
	flat_load_b64 v[11:12], v[4:5]
	s_waitcnt vmcnt(1) lgkmcnt(0)
	v_add_co_u32 v2, vcc_lo, v2, s4
	v_add_co_ci_u32_e32 v3, vcc_lo, s5, v3, vcc_lo
.LBB11_2:
	s_clause 0x1
	s_load_b32 s3, s[0:1], 0x154
	s_load_b32 s4, s[0:1], 0x148
	s_waitcnt lgkmcnt(0)
	s_and_b32 s5, s3, 0xffff
	s_add_u32 s6, s16, -1
	s_mul_i32 s24, s4, s5
	s_addc_u32 s3, s17, -1
	s_lshl_b32 s25, s24, 2
	s_cmp_lg_u64 s[2:3], 0
	s_cbranch_scc0 .LBB11_79
; %bb.3:
	v_cvt_f32_ubyte0_e32 v1, 0
	v_cvt_f32_u32_e32 v4, s25
	s_sub_u32 s8, 0, s25
	s_subb_u32 s9, 0, 0
	s_delay_alu instid0(VALU_DEP_1) | instskip(NEXT) | instid1(VALU_DEP_1)
	v_fmamk_f32 v1, v1, 0x4f800000, v4
	v_rcp_f32_e32 v1, v1
	s_waitcnt_depctr 0xfff
	v_mul_f32_e32 v1, 0x5f7ffffc, v1
	s_delay_alu instid0(VALU_DEP_1) | instskip(NEXT) | instid1(VALU_DEP_1)
	v_mul_f32_e32 v4, 0x2f800000, v1
	v_trunc_f32_e32 v4, v4
	s_delay_alu instid0(VALU_DEP_1) | instskip(SKIP_1) | instid1(VALU_DEP_2)
	v_fmamk_f32 v1, v4, 0xcf800000, v1
	v_cvt_u32_f32_e32 v4, v4
	v_cvt_u32_f32_e32 v1, v1
	s_delay_alu instid0(VALU_DEP_2) | instskip(NEXT) | instid1(VALU_DEP_2)
	v_readfirstlane_b32 s2, v4
	v_readfirstlane_b32 s7, v1
	s_delay_alu instid0(VALU_DEP_2) | instskip(NEXT) | instid1(VALU_DEP_1)
	s_mul_i32 s10, s8, s2
	s_mul_hi_u32 s12, s8, s7
	s_mul_i32 s11, s9, s7
	s_add_i32 s10, s12, s10
	s_mul_i32 s13, s8, s7
	s_add_i32 s10, s10, s11
	s_mul_hi_u32 s12, s7, s13
	s_mul_hi_u32 s14, s2, s13
	s_mul_i32 s11, s2, s13
	s_mul_hi_u32 s13, s7, s10
	s_mul_i32 s7, s7, s10
	s_mul_hi_u32 s18, s2, s10
	s_add_u32 s7, s12, s7
	s_addc_u32 s12, 0, s13
	s_add_u32 s7, s7, s11
	s_mul_i32 s10, s2, s10
	s_addc_u32 s7, s12, s14
	s_addc_u32 s11, s18, 0
	s_add_u32 s7, s7, s10
	s_addc_u32 s10, 0, s11
	v_add_co_u32 v1, s7, v1, s7
	s_delay_alu instid0(VALU_DEP_1) | instskip(SKIP_1) | instid1(VALU_DEP_1)
	s_cmp_lg_u32 s7, 0
	s_addc_u32 s2, s2, s10
	v_readfirstlane_b32 s7, v1
	s_mul_i32 s10, s8, s2
	s_delay_alu instid0(VALU_DEP_1)
	s_mul_hi_u32 s11, s8, s7
	s_mul_i32 s9, s9, s7
	s_add_i32 s10, s11, s10
	s_mul_i32 s8, s8, s7
	s_add_i32 s10, s10, s9
	s_mul_hi_u32 s11, s2, s8
	s_mul_i32 s12, s2, s8
	s_mul_hi_u32 s8, s7, s8
	s_mul_hi_u32 s13, s7, s10
	s_mul_i32 s7, s7, s10
	s_mul_hi_u32 s9, s2, s10
	s_add_u32 s7, s8, s7
	s_addc_u32 s8, 0, s13
	s_add_u32 s7, s7, s12
	s_mul_i32 s10, s2, s10
	s_addc_u32 s7, s8, s11
	s_addc_u32 s8, s9, 0
	s_add_u32 s7, s7, s10
	s_addc_u32 s8, 0, s8
	v_add_co_u32 v1, s7, v1, s7
	s_delay_alu instid0(VALU_DEP_1) | instskip(SKIP_2) | instid1(VALU_DEP_1)
	s_cmp_lg_u32 s7, 0
	s_addc_u32 s7, s2, s8
	s_ashr_i32 s8, s3, 31
	v_readfirstlane_b32 s10, v1
	s_add_u32 s2, s6, s8
	s_mov_b32 s9, s8
	s_addc_u32 s3, s3, s8
	s_delay_alu instid0(SALU_CYCLE_1) | instskip(NEXT) | instid1(SALU_CYCLE_1)
	s_xor_b64 s[2:3], s[2:3], s[8:9]
	s_mul_i32 s12, s2, s7
	s_mul_hi_u32 s13, s2, s10
	s_mul_hi_u32 s11, s2, s7
	;; [unrolled: 1-line block ×3, first 2 shown]
	s_mul_i32 s10, s3, s10
	s_add_u32 s12, s13, s12
	s_addc_u32 s11, 0, s11
	s_mul_hi_u32 s14, s3, s7
	s_add_u32 s10, s12, s10
	s_mul_i32 s7, s3, s7
	s_addc_u32 s10, s11, s18
	s_addc_u32 s11, s14, 0
	s_add_u32 s7, s10, s7
	s_addc_u32 s10, 0, s11
	s_mul_i32 s12, s25, s7
	s_add_u32 s11, s7, 1
	v_sub_co_u32 v1, s2, s2, s12
	s_mul_hi_u32 s12, s25, s7
	s_addc_u32 s13, s10, 0
	s_mul_i32 s14, s25, s10
	s_delay_alu instid0(VALU_DEP_1)
	v_sub_co_u32 v4, s18, v1, s25
	s_add_u32 s19, s7, 2
	s_addc_u32 s20, s10, 0
	s_add_i32 s12, s12, s14
	s_cmp_lg_u32 s2, 0
	v_readfirstlane_b32 s2, v4
	s_subb_u32 s3, s3, s12
	s_cmp_lg_u32 s18, 0
	s_subb_u32 s12, s3, 0
	s_delay_alu instid0(VALU_DEP_1) | instskip(SKIP_4) | instid1(SALU_CYCLE_1)
	s_cmp_ge_u32 s2, s25
	s_cselect_b32 s2, -1, 0
	s_cmp_eq_u32 s12, 0
	v_readfirstlane_b32 s12, v1
	s_cselect_b32 s2, s2, -1
	s_cmp_lg_u32 s2, 0
	s_cselect_b32 s2, s19, s11
	s_cselect_b32 s11, s20, s13
	s_cmp_ge_u32 s12, s25
	s_cselect_b32 s12, -1, 0
	s_cmp_eq_u32 s3, 0
	s_cselect_b32 s3, s12, -1
	s_delay_alu instid0(SALU_CYCLE_1) | instskip(SKIP_2) | instid1(SALU_CYCLE_1)
	s_cmp_lg_u32 s3, 0
	s_cselect_b32 s3, s11, s10
	s_cselect_b32 s2, s2, s7
	s_xor_b64 s[2:3], s[2:3], s[8:9]
	s_delay_alu instid0(SALU_CYCLE_1)
	s_sub_u32 s2, s2, s8
	s_subb_u32 s3, s3, s8
	s_cbranch_execnz .LBB11_5
.LBB11_4:
	v_cvt_f32_u32_e32 v1, s25
	s_sub_i32 s3, 0, s25
	s_delay_alu instid0(VALU_DEP_1) | instskip(SKIP_2) | instid1(VALU_DEP_1)
	v_rcp_iflag_f32_e32 v1, v1
	s_waitcnt_depctr 0xfff
	v_mul_f32_e32 v1, 0x4f7ffffe, v1
	v_cvt_u32_f32_e32 v1, v1
	s_delay_alu instid0(VALU_DEP_1) | instskip(NEXT) | instid1(VALU_DEP_1)
	v_readfirstlane_b32 s2, v1
	s_mul_i32 s3, s3, s2
	s_delay_alu instid0(SALU_CYCLE_1) | instskip(NEXT) | instid1(SALU_CYCLE_1)
	s_mul_hi_u32 s3, s2, s3
	s_add_i32 s2, s2, s3
	s_delay_alu instid0(SALU_CYCLE_1) | instskip(NEXT) | instid1(SALU_CYCLE_1)
	s_mul_hi_u32 s2, s6, s2
	s_mul_i32 s3, s2, s25
	s_delay_alu instid0(SALU_CYCLE_1)
	s_sub_i32 s3, s6, s3
	s_add_i32 s6, s2, 1
	s_sub_i32 s7, s3, s25
	s_cmp_ge_u32 s3, s25
	s_cselect_b32 s2, s6, s2
	s_cselect_b32 s3, s7, s3
	s_add_i32 s6, s2, 1
	s_cmp_ge_u32 s3, s25
	s_mov_b32 s3, 0
	s_cselect_b32 s2, s6, s2
.LBB11_5:
	v_mov_b32_e32 v1, 0
	s_add_u32 s2, s2, 1
	s_addc_u32 s3, s3, 0
	s_mul_hi_u32 s6, s24, s2
	s_mul_i32 s3, s24, s3
	v_mad_u64_u32 v[13:14], null, s5, s15, v[0:1]
	s_mul_hi_u32 s4, s4, s5
	s_add_i32 s3, s6, s3
	s_mul_i32 s4, s4, s2
	s_mul_i32 s2, s24, s2
	s_add_i32 s3, s3, s4
	s_mov_b32 s4, exec_lo
	s_lshl_b64 s[2:3], s[2:3], 2
	s_delay_alu instid0(SALU_CYCLE_1)
	v_cmpx_gt_i64_e64 s[2:3], v[13:14]
	s_cbranch_execz .LBB11_78
; %bb.6:
	s_load_b128 s[12:15], s[0:1], 0x138
	v_alignbit_b32 v24, v3, v2, 2
	s_waitcnt vmcnt(0)
	v_dual_mov_b32 v38, v12 :: v_dual_add_nc_u32 v19, 0x96a522ad, v12
	v_add_co_u32 v23, null, 0x9e3779b9, v11
	s_load_b256 s[4:11], s[0:1], 0x30
	s_waitcnt lgkmcnt(0)
	s_mov_b32 s11, 0x3e9b6dac
	v_add_co_u32 v26, null, 0x3c6ef372, v11
	v_add_co_u32 v32, null, 0x76cf5d0a, v38
	;; [unrolled: 1-line block ×6, first 2 shown]
	v_cvt_f32_f64_e32 v9, s[14:15]
	v_add_co_u32 v28, null, 0xb54cda56, v11
	v_add_co_u32 v33, null, 0xdb3d7428, v38
	;; [unrolled: 1-line block ×3, first 2 shown]
	s_add_u32 s18, s0, 48
	v_add_co_u32 v30, null, 0xf1bbcdc8, v11
	s_addc_u32 s19, s1, 0
	s_add_i32 s20, s4, -1
	s_load_b64 s[14:15], s[0:1], 0xf4
	s_cmp_gt_u32 s20, 1
	s_mov_b32 s26, 0
	s_mul_i32 s33, s24, 3
	v_add_nc_u32_e32 v18, 0x8ff34781, v11
	v_sub_f32_e32 v4, 1.0, v9
	s_delay_alu instid0(VALU_DEP_1) | instskip(NEXT) | instid1(VALU_DEP_1)
	v_cvt_f64_f32_e32 v[0:1], v4
	v_frexp_exp_i32_f64_e32 v0, v[0:1]
	v_frexp_mant_f32_e32 v1, v4
	s_delay_alu instid0(VALU_DEP_1) | instskip(NEXT) | instid1(VALU_DEP_3)
	v_cmp_gt_f32_e32 vcc_lo, 0x3f2aaaab, v1
	v_subrev_co_ci_u32_e32 v8, vcc_lo, 0, v0, vcc_lo
	v_add_f32_e32 v0, -1.0, v4
	v_cmp_eq_f32_e32 vcc_lo, 0xff800000, v9
	s_delay_alu instid0(VALU_DEP_3) | instskip(SKIP_1) | instid1(VALU_DEP_4)
	v_sub_nc_u32_e32 v1, 0, v8
	v_cvt_f32_i32_e32 v8, v8
	v_sub_f32_e32 v5, v0, v4
	s_delay_alu instid0(VALU_DEP_3) | instskip(NEXT) | instid1(VALU_DEP_2)
	v_ldexp_f32 v4, v4, v1
	v_add_f32_e32 v5, 1.0, v5
	v_sub_f32_e64 v0, -v9, v0
	s_delay_alu instid0(VALU_DEP_3) | instskip(NEXT) | instid1(VALU_DEP_1)
	v_add_f32_e32 v6, 1.0, v4
	v_dual_add_f32 v0, v0, v5 :: v_dual_add_f32 v5, -1.0, v6
	s_delay_alu instid0(VALU_DEP_1) | instskip(SKIP_1) | instid1(VALU_DEP_3)
	v_ldexp_f32 v0, v0, v1
	v_add_f32_e32 v1, -1.0, v4
	v_sub_f32_e32 v5, v4, v5
	s_delay_alu instid0(VALU_DEP_2) | instskip(NEXT) | instid1(VALU_DEP_2)
	v_add_f32_e32 v7, 1.0, v1
	v_add_f32_e32 v5, v0, v5
	s_delay_alu instid0(VALU_DEP_2) | instskip(NEXT) | instid1(VALU_DEP_1)
	v_sub_f32_e32 v4, v4, v7
	v_add_f32_e32 v0, v0, v4
	s_delay_alu instid0(VALU_DEP_1) | instskip(NEXT) | instid1(VALU_DEP_1)
	v_dual_add_f32 v4, v1, v0 :: v_dual_add_f32 v7, v6, v5
	v_sub_f32_e32 v1, v4, v1
	s_delay_alu instid0(VALU_DEP_2) | instskip(SKIP_1) | instid1(VALU_DEP_1)
	v_rcp_f32_e32 v10, v7
	v_sub_f32_e32 v6, v7, v6
	v_dual_sub_f32 v0, v0, v1 :: v_dual_sub_f32 v5, v5, v6
	s_waitcnt_depctr 0xfff
	v_mul_f32_e32 v15, v4, v10
	s_delay_alu instid0(VALU_DEP_1) | instskip(NEXT) | instid1(VALU_DEP_1)
	v_mul_f32_e32 v16, v7, v15
	v_fma_f32 v6, v15, v7, -v16
	s_delay_alu instid0(VALU_DEP_1) | instskip(NEXT) | instid1(VALU_DEP_1)
	v_fmac_f32_e32 v6, v15, v5
	v_add_f32_e32 v17, v16, v6
	s_delay_alu instid0(VALU_DEP_1) | instskip(NEXT) | instid1(VALU_DEP_1)
	v_sub_f32_e32 v25, v4, v17
	v_dual_sub_f32 v1, v17, v16 :: v_dual_sub_f32 v4, v4, v25
	s_delay_alu instid0(VALU_DEP_1) | instskip(NEXT) | instid1(VALU_DEP_1)
	v_dual_sub_f32 v1, v1, v6 :: v_dual_sub_f32 v4, v4, v17
	v_dual_add_f32 v0, v0, v4 :: v_dual_and_b32 v17, 3, v2
	s_delay_alu instid0(VALU_DEP_1) | instskip(SKIP_1) | instid1(VALU_DEP_2)
	v_add_f32_e32 v4, v1, v0
	v_mad_u64_u32 v[0:1], null, 0xcd9e8d57, v13, 0
	v_add_f32_e32 v6, v25, v4
	s_delay_alu instid0(VALU_DEP_1) | instskip(SKIP_2) | instid1(VALU_DEP_3)
	v_mul_f32_e32 v16, v10, v6
	v_sub_f32_e32 v2, v25, v6
	v_lshrrev_b32_e32 v25, 2, v3
	v_mul_f32_e32 v27, v7, v16
	v_add_f32_e32 v36, v15, v16
	s_delay_alu instid0(VALU_DEP_3) | instskip(SKIP_1) | instid1(VALU_DEP_4)
	v_xor3_b32 v1, v11, v1, v25
	v_add_f32_e32 v4, v4, v2
	v_fma_f32 v7, v16, v7, -v27
	s_delay_alu instid0(VALU_DEP_1) | instskip(NEXT) | instid1(VALU_DEP_1)
	v_fmac_f32_e32 v7, v16, v5
	v_add_f32_e32 v5, v27, v7
	s_delay_alu instid0(VALU_DEP_1) | instskip(NEXT) | instid1(VALU_DEP_1)
	v_sub_f32_e32 v29, v6, v5
	v_dual_sub_f32 v3, v6, v29 :: v_dual_sub_f32 v6, v5, v27
	v_add_co_u32 v27, null, 0x78dde6e4, v11
	s_delay_alu instid0(VALU_DEP_2) | instskip(SKIP_2) | instid1(VALU_DEP_3)
	v_dual_sub_f32 v5, v3, v5 :: v_dual_sub_f32 v6, v6, v7
	v_mad_u64_u32 v[2:3], null, 0xd2511f53, v24, 0
	v_sub_f32_e32 v7, v36, v15
	v_add_f32_e32 v4, v4, v5
	s_delay_alu instid0(VALU_DEP_3) | instskip(NEXT) | instid1(VALU_DEP_2)
	v_xor_b32_e32 v5, v3, v12
	v_add_f32_e32 v6, v6, v4
	v_mad_u64_u32 v[3:4], null, 0xd2511f53, v1, 0
	s_delay_alu instid0(VALU_DEP_3) | instskip(NEXT) | instid1(VALU_DEP_3)
	v_xor_b32_e32 v1, v5, v14
	v_add_f32_e32 v15, v29, v6
	v_add_co_u32 v29, null, 0xbb67ae85, v38
	s_delay_alu instid0(VALU_DEP_3) | instskip(SKIP_1) | instid1(VALU_DEP_4)
	v_mad_u64_u32 v[5:6], null, 0xcd9e8d57, v1, 0
	v_sub_f32_e32 v1, v16, v7
	v_mul_f32_e32 v7, v10, v15
	s_delay_alu instid0(VALU_DEP_4) | instskip(NEXT) | instid1(VALU_DEP_4)
	v_xor3_b32 v4, v29, v4, v2
	v_xor3_b32 v0, v23, v6, v0
	s_delay_alu instid0(VALU_DEP_3) | instskip(NEXT) | instid1(VALU_DEP_3)
	v_add_f32_e32 v10, v1, v7
	v_mad_u64_u32 v[1:2], null, 0xcd9e8d57, v4, 0
	s_delay_alu instid0(VALU_DEP_3) | instskip(NEXT) | instid1(VALU_DEP_3)
	v_mad_u64_u32 v[6:7], null, 0xd2511f53, v0, 0
	v_add_f32_e32 v15, v36, v10
	v_mov_b32_e32 v31, v13
	s_delay_alu instid0(VALU_DEP_4) | instskip(NEXT) | instid1(VALU_DEP_3)
	v_xor3_b32 v2, v26, v2, v5
	v_mul_f32_e32 v0, v15, v15
	v_xor3_b32 v7, v32, v7, v3
	s_delay_alu instid0(VALU_DEP_3) | instskip(NEXT) | instid1(VALU_DEP_3)
	v_mad_u64_u32 v[4:5], null, 0xd2511f53, v2, 0
	v_fmaak_f32 v16, s11, v0, 0x3ecc95a3
	s_delay_alu instid0(VALU_DEP_3) | instskip(SKIP_2) | instid1(VALU_DEP_3)
	v_mad_u64_u32 v[2:3], null, 0xcd9e8d57, v7, 0
	v_mul_f32_e32 v35, v15, v0
	s_cselect_b32 s11, -1, 0
	v_fmaak_f32 v0, v0, v16, 0x3f2aaada
	s_cmp_lg_u32 s4, 0
	s_cselect_b32 s27, -1, 0
	s_delay_alu instid0(VALU_DEP_3) | instskip(NEXT) | instid1(VALU_DEP_2)
	v_xor3_b32 v3, v22, v3, v1
	v_mul_f32_e32 v16, v35, v0
	v_xor3_b32 v0, v34, v5, v6
	v_mul_f32_e32 v40, 0x3f317218, v8
	v_ldexp_f32 v7, v15, 1
	v_add_co_u32 v35, null, 0x646e171e, v38
	s_delay_alu instid0(VALU_DEP_4)
	v_mad_u64_u32 v[5:6], null, 0xcd9e8d57, v0, 0
	v_mad_u64_u32 v[0:1], null, 0xd2511f53, v3, 0
	v_fma_f32 v3, 0x3f317218, v8, -v40
	v_sub_f32_e32 v15, v15, v36
	v_add_co_u32 v36, null, 0xed9eba14, v38
	v_xor3_b32 v6, v27, v6, v2
	s_delay_alu instid0(VALU_DEP_4) | instskip(NEXT) | instid1(VALU_DEP_4)
	v_dual_fmamk_f32 v8, v8, 0xb102e308, v3 :: v_dual_add_f32 v39, v7, v16
	v_sub_f32_e32 v10, v10, v15
	s_delay_alu instid0(VALU_DEP_4) | instskip(NEXT) | instid1(VALU_DEP_4)
	v_xor3_b32 v1, v36, v1, v4
	v_mad_u64_u32 v[2:3], null, 0xd2511f53, v6, 0
	s_delay_alu instid0(VALU_DEP_4) | instskip(NEXT) | instid1(VALU_DEP_4)
	v_sub_f32_e32 v7, v39, v7
	v_ldexp_f32 v10, v10, 1
	v_add_co_u32 v38, null, 0x1fd5c5a3, v38
	s_add_u32 s0, s0, 0xf4
	s_delay_alu instid0(VALU_DEP_3)
	v_sub_f32_e32 v7, v16, v7
	v_add_f32_e32 v15, v40, v8
	v_xor3_b32 v3, v37, v3, v0
	s_addc_u32 s1, s1, 0
	s_min_u32 s21, s20, 15
	v_add_f32_e32 v10, v10, v7
	v_mad_u64_u32 v[6:7], null, 0xcd9e8d57, v1, 0
	v_mad_u64_u32 v[0:1], null, 0xcd9e8d57, v3, 0
	s_cmp_gt_u32 s4, 1
	s_cselect_b32 s4, -1, 0
	s_add_i32 s21, s21, 1
	s_delay_alu instid0(VALU_DEP_2) | instskip(SKIP_2) | instid1(VALU_DEP_4)
	v_xor3_b32 v5, v21, v7, v5
	v_sub_f32_e32 v7, v15, v40
	v_add_f32_e32 v16, v39, v10
	v_xor3_b32 v6, v28, v1, v6
	s_lshl_b32 s28, s24, 1
	v_mad_u64_u32 v[3:4], null, 0xd2511f53, v5, 0
	v_sub_f32_e32 v7, v8, v7
	v_sub_f32_e32 v39, v16, v39
	v_add_f32_e32 v41, v15, v16
	s_and_b32 s29, s21, 3
	s_cmp_lg_u32 s20, 2
	v_cmp_gt_f32_e64 s20, 0x33800000, |v9|
	v_sub_f32_e32 v8, v10, v39
	v_sub_f32_e32 v42, v41, v15
	s_cselect_b32 s30, -1, 0
	s_and_b32 s31, s21, 28
	s_cmp_lg_u32 s29, 0
	s_delay_alu instid0(VALU_DEP_1) | instskip(SKIP_1) | instid1(VALU_DEP_1)
	v_sub_f32_e32 v40, v41, v42
	s_cselect_b32 s34, -1, 0
	v_sub_f32_e32 v10, v15, v40
	v_add_f32_e32 v15, v7, v8
	v_dual_sub_f32 v5, v16, v42 :: v_dual_mov_b32 v40, v14
	s_delay_alu instid0(VALU_DEP_1) | instskip(SKIP_2) | instid1(VALU_DEP_3)
	v_dual_sub_f32 v16, v15, v7 :: v_dual_add_f32 v5, v5, v10
	v_xor3_b32 v10, v35, v4, v2
	v_mad_u64_u32 v[1:2], null, 0xd2511f53, v6, 0
	v_sub_f32_e32 v6, v15, v16
	s_delay_alu instid0(VALU_DEP_4) | instskip(NEXT) | instid1(VALU_DEP_4)
	v_dual_add_f32 v39, v15, v5 :: v_dual_sub_f32 v8, v8, v16
	v_mad_u64_u32 v[4:5], null, 0xcd9e8d57, v10, 0
	s_delay_alu instid0(VALU_DEP_3) | instskip(NEXT) | instid1(VALU_DEP_3)
	v_sub_f32_e32 v6, v7, v6
	v_add_f32_e32 v10, v41, v39
	v_xor3_b32 v2, v38, v2, v3
	s_delay_alu instid0(VALU_DEP_3) | instskip(NEXT) | instid1(VALU_DEP_3)
	v_add_f32_e32 v3, v8, v6
	v_sub_f32_e32 v7, v10, v41
	v_xor3_b32 v0, v20, v5, v0
	s_delay_alu instid0(VALU_DEP_4) | instskip(NEXT) | instid1(VALU_DEP_3)
	v_mad_u64_u32 v[5:6], null, 0xcd9e8d57, v2, 0
	v_sub_f32_e32 v15, v39, v7
	s_delay_alu instid0(VALU_DEP_3) | instskip(NEXT) | instid1(VALU_DEP_2)
	v_mad_u64_u32 v[7:8], null, 0xd2511f53, v0, 0
	v_add_f32_e32 v0, v3, v15
	s_delay_alu instid0(VALU_DEP_4) | instskip(NEXT) | instid1(VALU_DEP_3)
	v_xor3_b32 v2, v30, v6, v4
	v_xor3_b32 v6, v33, v8, v1
	s_delay_alu instid0(VALU_DEP_3) | instskip(NEXT) | instid1(VALU_DEP_3)
	v_add_f32_e32 v0, v10, v0
	v_mad_u64_u32 v[3:4], null, 0xd2511f53, v2, 0
	s_delay_alu instid0(VALU_DEP_3) | instskip(NEXT) | instid1(VALU_DEP_3)
	v_mad_u64_u32 v[1:2], null, 0xcd9e8d57, v6, 0
	v_cndmask_b32_e64 v0, v0, -v9, vcc_lo
	v_cmp_nlt_f32_e32 vcc_lo, 1.0, v9
	s_delay_alu instid0(VALU_DEP_2) | instskip(SKIP_1) | instid1(VALU_DEP_2)
	v_cndmask_b32_e32 v0, 0x7fc00000, v0, vcc_lo
	v_cmp_neq_f32_e32 vcc_lo, 1.0, v9
	v_cndmask_b32_e32 v6, 0xff800000, v0, vcc_lo
	v_xor3_b32 v0, v2, v5, v18
	v_xor3_b32 v2, v4, v7, v19
	s_delay_alu instid0(VALU_DEP_3)
	v_cndmask_b32_e64 v39, v6, -v9, s20
	s_branch .LBB11_9
.LBB11_7:                               ;   in Loop: Header=BB11_9 Depth=1
	v_cvt_f32_u32_e32 v0, v3
	s_delay_alu instid0(VALU_DEP_1) | instskip(NEXT) | instid1(VALU_DEP_1)
	v_fmaak_f32 v0, 0x2f800000, v0, 0x2f800000
	v_cmp_gt_f32_e32 vcc_lo, 0x800000, v0
	v_cndmask_b32_e64 v2, 1.0, 0x4f800000, vcc_lo
	s_delay_alu instid0(VALU_DEP_1) | instskip(NEXT) | instid1(VALU_DEP_1)
	v_mul_f32_e32 v0, v0, v2
	v_log_f32_e32 v0, v0
	s_waitcnt_depctr 0xfff
	v_mul_f32_e32 v2, 0x3f317217, v0
	s_delay_alu instid0(VALU_DEP_1) | instskip(NEXT) | instid1(VALU_DEP_1)
	v_fma_f32 v3, 0x3f317217, v0, -v2
	v_fmac_f32_e32 v3, 0x3377d1cf, v0
	s_delay_alu instid0(VALU_DEP_1) | instskip(SKIP_2) | instid1(VALU_DEP_3)
	v_add_f32_e32 v2, v2, v3
	v_cndmask_b32_e64 v3, 0, 0x41b17218, vcc_lo
	v_cmp_gt_f32_e64 vcc_lo, 0x7f800000, |v0|
	v_cndmask_b32_e32 v0, v0, v2, vcc_lo
	s_delay_alu instid0(VALU_DEP_1) | instskip(NEXT) | instid1(VALU_DEP_1)
	v_sub_f32_e32 v0, v0, v3
	v_div_scale_f32 v2, null, v39, v39, v0
	s_delay_alu instid0(VALU_DEP_1) | instskip(SKIP_2) | instid1(VALU_DEP_1)
	v_rcp_f32_e32 v3, v2
	s_waitcnt_depctr 0xfff
	v_fma_f32 v7, -v2, v3, 1.0
	v_fmac_f32_e32 v3, v7, v3
	v_div_scale_f32 v7, vcc_lo, v0, v39, v0
	s_delay_alu instid0(VALU_DEP_1) | instskip(NEXT) | instid1(VALU_DEP_1)
	v_mul_f32_e32 v8, v7, v3
	v_fma_f32 v9, -v2, v8, v7
	s_delay_alu instid0(VALU_DEP_1) | instskip(NEXT) | instid1(VALU_DEP_1)
	v_fmac_f32_e32 v8, v9, v3
	v_fma_f32 v2, -v2, v8, v7
	s_delay_alu instid0(VALU_DEP_1) | instskip(NEXT) | instid1(VALU_DEP_1)
	v_div_fmas_f32 v2, v2, v3, v8
	v_div_fixup_f32 v0, v2, v39, v0
	s_delay_alu instid0(VALU_DEP_1) | instskip(NEXT) | instid1(VALU_DEP_1)
	v_ceil_f32_e32 v0, v0
	v_cvt_i32_f32_e32 v0, v0
	global_store_b32 v1, v0, s[12:13]
.LBB11_8:                               ;   in Loop: Header=BB11_9 Depth=1
	s_or_b32 exec_lo, exec_lo, s35
	v_add_co_u32 v13, vcc_lo, v13, s25
	v_add_co_ci_u32_e32 v14, vcc_lo, 0, v14, vcc_lo
	v_mov_b32_e32 v7, v15
	v_dual_mov_b32 v0, v4 :: v_dual_mov_b32 v1, v5
	s_delay_alu instid0(VALU_DEP_3) | instskip(NEXT) | instid1(VALU_DEP_3)
	v_cmp_le_i64_e32 vcc_lo, s[2:3], v[13:14]
	v_dual_mov_b32 v2, v6 :: v_dual_mov_b32 v3, v7
	s_waitcnt lgkmcnt(0)
	s_waitcnt_vscnt null, 0x0
	s_barrier
	buffer_gl0_inv
	s_or_b32 s26, vcc_lo, s26
	s_delay_alu instid0(SALU_CYCLE_1)
	s_and_not1_b32 exec_lo, exec_lo, s26
	s_cbranch_execz .LBB11_78
.LBB11_9:                               ; =>This Loop Header: Depth=1
                                        ;     Child Loop BB11_24 Depth 2
                                        ;     Child Loop BB11_29 Depth 2
	;; [unrolled: 1-line block ×8, first 2 shown]
	v_add_co_u32 v24, vcc_lo, v24, 1
	s_delay_alu instid0(VALU_DEP_1) | instskip(SKIP_2) | instid1(VALU_DEP_1)
	v_cndmask_b32_e64 v4, 0, 1, vcc_lo
	v_add_co_ci_u32_e32 v25, vcc_lo, 0, v25, vcc_lo
	s_mov_b32 s20, exec_lo
	v_cmp_eq_u32_e32 vcc_lo, 0, v25
	s_delay_alu instid0(VALU_DEP_3) | instskip(NEXT) | instid1(VALU_DEP_1)
	v_cndmask_b32_e32 v4, 0, v4, vcc_lo
	v_add_nc_u32_e32 v31, v4, v31
	s_delay_alu instid0(VALU_DEP_1) | instskip(SKIP_2) | instid1(VALU_DEP_2)
	v_cmp_eq_u32_e32 vcc_lo, 0, v31
	v_cndmask_b32_e32 v4, 0, v4, vcc_lo
	v_mad_u64_u32 v[6:7], null, 0xcd9e8d57, v31, 0
	v_add_nc_u32_e32 v40, v4, v40
	v_mad_u64_u32 v[4:5], null, 0xd2511f53, v24, 0
	s_delay_alu instid0(VALU_DEP_3) | instskip(NEXT) | instid1(VALU_DEP_2)
	v_xor3_b32 v9, v7, v11, v25
	v_xor_b32_e32 v5, v5, v12
	s_delay_alu instid0(VALU_DEP_2) | instskip(NEXT) | instid1(VALU_DEP_2)
	v_mad_u64_u32 v[7:8], null, 0xd2511f53, v9, 0
	v_xor_b32_e32 v5, v40, v5
	s_delay_alu instid0(VALU_DEP_2) | instskip(NEXT) | instid1(VALU_DEP_2)
	v_xor3_b32 v8, v29, v8, v4
	v_mad_u64_u32 v[9:10], null, 0xcd9e8d57, v5, 0
	s_delay_alu instid0(VALU_DEP_2) | instskip(NEXT) | instid1(VALU_DEP_2)
	v_mad_u64_u32 v[4:5], null, 0xcd9e8d57, v8, 0
	v_xor3_b32 v6, v23, v10, v6
	s_delay_alu instid0(VALU_DEP_2) | instskip(NEXT) | instid1(VALU_DEP_2)
	v_xor3_b32 v8, v26, v5, v9
	v_mad_u64_u32 v[15:16], null, 0xd2511f53, v6, 0
	s_delay_alu instid0(VALU_DEP_2) | instskip(NEXT) | instid1(VALU_DEP_2)
	v_mad_u64_u32 v[5:6], null, 0xd2511f53, v8, 0
	v_xor3_b32 v9, v32, v16, v7
	s_delay_alu instid0(VALU_DEP_2) | instskip(NEXT) | instid1(VALU_DEP_2)
	v_xor3_b32 v6, v34, v6, v15
	v_mad_u64_u32 v[7:8], null, 0xcd9e8d57, v9, 0
	s_delay_alu instid0(VALU_DEP_1) | instskip(NEXT) | instid1(VALU_DEP_3)
	v_xor3_b32 v4, v22, v8, v4
	v_mad_u64_u32 v[8:9], null, 0xcd9e8d57, v6, 0
	s_delay_alu instid0(VALU_DEP_2) | instskip(NEXT) | instid1(VALU_DEP_2)
	v_mad_u64_u32 v[15:16], null, 0xd2511f53, v4, 0
	v_xor3_b32 v6, v27, v9, v7
	s_delay_alu instid0(VALU_DEP_2) | instskip(NEXT) | instid1(VALU_DEP_2)
	v_xor3_b32 v9, v36, v16, v5
	v_mad_u64_u32 v[4:5], null, 0xd2511f53, v6, 0
	s_delay_alu instid0(VALU_DEP_2) | instskip(NEXT) | instid1(VALU_DEP_2)
	v_mad_u64_u32 v[6:7], null, 0xcd9e8d57, v9, 0
	v_xor3_b32 v5, v37, v5, v15
	s_delay_alu instid0(VALU_DEP_2) | instskip(NEXT) | instid1(VALU_DEP_2)
	;; [unrolled: 6-line block ×6, first 2 shown]
	v_xor3_b32 v4, v6, v7, v18
	v_mov_b32_e32 v6, v10
	v_cmpx_lt_i32_e32 1, v17
	s_xor_b32 s20, exec_lo, s20
	s_cbranch_execnz .LBB11_12
; %bb.10:                               ;   in Loop: Header=BB11_9 Depth=1
	s_and_not1_saveexec_b32 s20, s20
	s_cbranch_execnz .LBB11_17
.LBB11_11:                              ;   in Loop: Header=BB11_9 Depth=1
	s_or_b32 exec_lo, exec_lo, s20
	s_delay_alu instid0(SALU_CYCLE_1)
	s_mov_b32 s35, exec_lo
	v_cmpx_gt_i64_e64 s[16:17], v[13:14]
	s_cbranch_execnz .LBB11_20
	s_branch .LBB11_34
.LBB11_12:                              ;   in Loop: Header=BB11_9 Depth=1
	s_mov_b32 s21, exec_lo
	v_cmpx_lt_i32_e32 2, v17
	s_xor_b32 s21, exec_lo, s21
; %bb.13:                               ;   in Loop: Header=BB11_9 Depth=1
	v_dual_mov_b32 v7, v3 :: v_dual_mov_b32 v8, v4
	v_mov_b32_e32 v9, v5
	s_delay_alu instid0(VALU_DEP_2) | instskip(NEXT) | instid1(VALU_DEP_2)
	v_dual_mov_b32 v0, v7 :: v_dual_mov_b32 v1, v8
	v_dual_mov_b32 v2, v9 :: v_dual_mov_b32 v3, v10
; %bb.14:                               ;   in Loop: Header=BB11_9 Depth=1
	s_and_not1_saveexec_b32 s21, s21
; %bb.15:                               ;   in Loop: Header=BB11_9 Depth=1
	s_delay_alu instid0(VALU_DEP_1)
	v_dual_mov_b32 v0, v2 :: v_dual_mov_b32 v1, v3
	v_dual_mov_b32 v2, v4 :: v_dual_mov_b32 v3, v5
; %bb.16:                               ;   in Loop: Header=BB11_9 Depth=1
	s_or_b32 exec_lo, exec_lo, s21
	s_and_not1_saveexec_b32 s20, s20
	s_cbranch_execz .LBB11_11
.LBB11_17:                              ;   in Loop: Header=BB11_9 Depth=1
	s_mov_b32 s21, exec_lo
	v_cmpx_eq_u32_e32 1, v17
; %bb.18:                               ;   in Loop: Header=BB11_9 Depth=1
	v_dual_mov_b32 v0, v1 :: v_dual_mov_b32 v1, v2
	v_dual_mov_b32 v2, v3 :: v_dual_mov_b32 v3, v4
; %bb.19:                               ;   in Loop: Header=BB11_9 Depth=1
	s_or_b32 exec_lo, exec_lo, s21
	s_delay_alu instid0(SALU_CYCLE_1) | instskip(NEXT) | instid1(SALU_CYCLE_1)
	s_or_b32 exec_lo, exec_lo, s20
	s_mov_b32 s35, exec_lo
	v_cmpx_gt_i64_e64 s[16:17], v[13:14]
	s_cbranch_execz .LBB11_34
.LBB11_20:                              ;   in Loop: Header=BB11_9 Depth=1
	s_and_not1_b32 vcc_lo, exec_lo, s11
	s_cbranch_vccnz .LBB11_26
; %bb.21:                               ;   in Loop: Header=BB11_9 Depth=1
	v_mov_b32_e32 v7, 0
	s_and_not1_b32 vcc_lo, exec_lo, s27
	s_cbranch_vccnz .LBB11_30
; %bb.22:                               ;   in Loop: Header=BB11_9 Depth=1
	s_and_not1_b32 vcc_lo, exec_lo, s30
	s_mov_b32 s20, 0
	s_cbranch_vccnz .LBB11_27
; %bb.23:                               ;   in Loop: Header=BB11_9 Depth=1
	v_dual_mov_b32 v7, 0 :: v_dual_mov_b32 v8, v13
	s_mov_b32 s36, 0
	s_mov_b64 s[20:21], s[18:19]
	s_mov_b64 s[22:23], s[0:1]
.LBB11_24:                              ;   Parent Loop BB11_9 Depth=1
                                        ; =>  This Inner Loop Header: Depth=2
	s_clause 0x1
	s_load_b256 s[40:47], s[20:21], 0x4
	s_load_b128 s[48:51], s[20:21], 0x24
	s_load_b128 s[52:55], s[22:23], 0x0
	s_add_u32 s20, s20, 48
	s_addc_u32 s21, s21, 0
	s_add_i32 s36, s36, 4
	s_add_u32 s22, s22, 16
	s_addc_u32 s23, s23, 0
	s_cmp_lg_u32 s31, s36
	s_waitcnt lgkmcnt(0)
	v_mul_hi_u32 v9, s41, v8
	s_delay_alu instid0(VALU_DEP_1) | instskip(NEXT) | instid1(VALU_DEP_1)
	v_add_nc_u32_e32 v9, v8, v9
	v_lshrrev_b32_e32 v9, s42, v9
	s_delay_alu instid0(VALU_DEP_1) | instskip(SKIP_1) | instid1(VALU_DEP_2)
	v_mul_hi_u32 v10, s44, v9
	v_mul_lo_u32 v42, v9, s40
	v_add_nc_u32_e32 v10, v9, v10
	s_delay_alu instid0(VALU_DEP_2) | instskip(NEXT) | instid1(VALU_DEP_2)
	v_sub_nc_u32_e32 v42, v8, v42
	v_lshrrev_b32_e32 v10, s45, v10
	s_delay_alu instid0(VALU_DEP_2) | instskip(NEXT) | instid1(VALU_DEP_2)
	v_mul_lo_u32 v42, v42, s52
	v_mul_hi_u32 v16, s47, v10
	v_mul_lo_u32 v43, v10, s43
	s_delay_alu instid0(VALU_DEP_2) | instskip(NEXT) | instid1(VALU_DEP_2)
	v_add_nc_u32_e32 v16, v10, v16
	v_sub_nc_u32_e32 v9, v9, v43
	s_delay_alu instid0(VALU_DEP_2) | instskip(NEXT) | instid1(VALU_DEP_2)
	v_lshrrev_b32_e32 v16, s48, v16
	v_mul_lo_u32 v9, v9, s53
	s_delay_alu instid0(VALU_DEP_2) | instskip(NEXT) | instid1(VALU_DEP_2)
	v_mul_hi_u32 v41, s50, v16
	v_add3_u32 v7, v42, v7, v9
	s_delay_alu instid0(VALU_DEP_2) | instskip(NEXT) | instid1(VALU_DEP_1)
	v_add_nc_u32_e32 v41, v16, v41
	v_lshrrev_b32_e32 v8, s51, v41
	v_mul_lo_u32 v41, v16, s46
	s_delay_alu instid0(VALU_DEP_2) | instskip(NEXT) | instid1(VALU_DEP_2)
	v_mul_lo_u32 v44, v8, s49
	v_sub_nc_u32_e32 v10, v10, v41
	s_delay_alu instid0(VALU_DEP_2) | instskip(NEXT) | instid1(VALU_DEP_2)
	v_sub_nc_u32_e32 v16, v16, v44
	v_mul_lo_u32 v10, v10, s54
	s_delay_alu instid0(VALU_DEP_2) | instskip(NEXT) | instid1(VALU_DEP_1)
	v_mul_lo_u32 v16, v16, s55
	v_add3_u32 v7, v10, v7, v16
	s_cbranch_scc1 .LBB11_24
; %bb.25:                               ;   in Loop: Header=BB11_9 Depth=1
	s_mov_b32 s20, s31
	s_and_not1_b32 vcc_lo, exec_lo, s34
	s_cbranch_vccz .LBB11_28
	s_branch .LBB11_30
.LBB11_26:                              ;   in Loop: Header=BB11_9 Depth=1
                                        ; implicit-def: $vgpr7
	s_branch .LBB11_31
.LBB11_27:                              ;   in Loop: Header=BB11_9 Depth=1
	v_mov_b32_e32 v8, v13
	s_and_not1_b32 vcc_lo, exec_lo, s34
	s_cbranch_vccnz .LBB11_30
.LBB11_28:                              ;   in Loop: Header=BB11_9 Depth=1
	s_lshl_b32 s21, s20, 2
	s_mul_i32 s22, s20, 12
	s_add_u32 s20, s0, s21
	s_addc_u32 s21, s1, 0
	s_add_u32 s22, s18, s22
	s_addc_u32 s23, s19, 0
	s_mov_b32 s36, s29
	.p2align	6
.LBB11_29:                              ;   Parent Loop BB11_9 Depth=1
                                        ; =>  This Inner Loop Header: Depth=2
	s_clause 0x1
	s_load_b64 s[38:39], s[22:23], 0x4
	s_load_b32 s37, s[22:23], 0xc
	s_add_u32 s22, s22, 12
	s_addc_u32 s23, s23, 0
	s_waitcnt lgkmcnt(0)
	v_mul_hi_u32 v9, s39, v8
	s_load_b32 s39, s[20:21], 0x0
	s_add_u32 s20, s20, 4
	s_addc_u32 s21, s21, 0
	s_add_i32 s36, s36, -1
	s_delay_alu instid0(SALU_CYCLE_1) | instskip(NEXT) | instid1(VALU_DEP_1)
	s_cmp_lg_u32 s36, 0
	v_add_nc_u32_e32 v9, v8, v9
	s_delay_alu instid0(VALU_DEP_1) | instskip(NEXT) | instid1(VALU_DEP_1)
	v_lshrrev_b32_e32 v16, s37, v9
	v_mul_lo_u32 v9, v16, s38
	s_delay_alu instid0(VALU_DEP_1) | instskip(SKIP_1) | instid1(VALU_DEP_1)
	v_sub_nc_u32_e32 v8, v8, v9
	s_waitcnt lgkmcnt(0)
	v_mad_u64_u32 v[9:10], null, v8, s39, v[7:8]
	s_delay_alu instid0(VALU_DEP_1)
	v_dual_mov_b32 v8, v16 :: v_dual_mov_b32 v7, v9
	s_cbranch_scc1 .LBB11_29
.LBB11_30:                              ;   in Loop: Header=BB11_9 Depth=1
	s_cbranch_execnz .LBB11_33
.LBB11_31:                              ;   in Loop: Header=BB11_9 Depth=1
	v_mul_hi_u32 v7, v13, s6
	s_and_not1_b32 vcc_lo, exec_lo, s4
	s_delay_alu instid0(VALU_DEP_1) | instskip(NEXT) | instid1(VALU_DEP_1)
	v_add_nc_u32_e32 v7, v7, v13
	v_lshrrev_b32_e32 v8, s7, v7
	s_delay_alu instid0(VALU_DEP_1) | instskip(NEXT) | instid1(VALU_DEP_1)
	v_mul_lo_u32 v7, v8, s5
	v_sub_nc_u32_e32 v7, v13, v7
	s_waitcnt lgkmcnt(0)
	s_delay_alu instid0(VALU_DEP_1)
	v_mul_lo_u32 v7, v7, s14
	s_cbranch_vccnz .LBB11_33
; %bb.32:                               ;   in Loop: Header=BB11_9 Depth=1
	v_mul_hi_u32 v9, s9, v8
	s_delay_alu instid0(VALU_DEP_1) | instskip(NEXT) | instid1(VALU_DEP_1)
	v_add_nc_u32_e32 v9, v8, v9
	v_lshrrev_b32_e32 v9, s10, v9
	s_delay_alu instid0(VALU_DEP_1) | instskip(NEXT) | instid1(VALU_DEP_1)
	v_mul_lo_u32 v9, v9, s8
	v_sub_nc_u32_e32 v10, v8, v9
	s_delay_alu instid0(VALU_DEP_1) | instskip(NEXT) | instid1(VALU_DEP_1)
	v_mad_u64_u32 v[8:9], null, v10, s15, v[7:8]
	v_mov_b32_e32 v7, v8
.LBB11_33:                              ;   in Loop: Header=BB11_9 Depth=1
	v_cvt_f32_u32_e32 v0, v0
	s_delay_alu instid0(VALU_DEP_1) | instskip(NEXT) | instid1(VALU_DEP_1)
	v_fmaak_f32 v0, 0x2f800000, v0, 0x2f800000
	v_cmp_gt_f32_e32 vcc_lo, 0x800000, v0
	v_cndmask_b32_e64 v8, 1.0, 0x4f800000, vcc_lo
	s_delay_alu instid0(VALU_DEP_1) | instskip(NEXT) | instid1(VALU_DEP_1)
	v_mul_f32_e32 v0, v0, v8
	v_log_f32_e32 v0, v0
	s_waitcnt_depctr 0xfff
	v_mul_f32_e32 v8, 0x3f317217, v0
	s_delay_alu instid0(VALU_DEP_1) | instskip(NEXT) | instid1(VALU_DEP_1)
	v_fma_f32 v9, 0x3f317217, v0, -v8
	v_fmac_f32_e32 v9, 0x3377d1cf, v0
	s_delay_alu instid0(VALU_DEP_1) | instskip(SKIP_2) | instid1(VALU_DEP_3)
	v_add_f32_e32 v8, v8, v9
	v_cndmask_b32_e64 v9, 0, 0x41b17218, vcc_lo
	v_cmp_gt_f32_e64 vcc_lo, 0x7f800000, |v0|
	v_cndmask_b32_e32 v0, v0, v8, vcc_lo
	s_delay_alu instid0(VALU_DEP_1) | instskip(NEXT) | instid1(VALU_DEP_1)
	v_sub_f32_e32 v0, v0, v9
	v_div_scale_f32 v8, null, v39, v39, v0
	s_delay_alu instid0(VALU_DEP_1) | instskip(SKIP_2) | instid1(VALU_DEP_1)
	v_rcp_f32_e32 v9, v8
	s_waitcnt_depctr 0xfff
	v_fma_f32 v10, -v8, v9, 1.0
	v_fmac_f32_e32 v9, v10, v9
	v_div_scale_f32 v10, vcc_lo, v0, v39, v0
	s_delay_alu instid0(VALU_DEP_1) | instskip(NEXT) | instid1(VALU_DEP_1)
	v_mul_f32_e32 v16, v10, v9
	v_fma_f32 v41, -v8, v16, v10
	s_delay_alu instid0(VALU_DEP_1) | instskip(NEXT) | instid1(VALU_DEP_1)
	v_fmac_f32_e32 v16, v41, v9
	v_fma_f32 v8, -v8, v16, v10
	s_delay_alu instid0(VALU_DEP_1) | instskip(NEXT) | instid1(VALU_DEP_1)
	v_div_fmas_f32 v8, v8, v9, v16
	v_div_fixup_f32 v0, v8, v39, v0
	s_delay_alu instid0(VALU_DEP_1) | instskip(NEXT) | instid1(VALU_DEP_1)
	v_ceil_f32_e32 v0, v0
	v_cvt_i32_f32_e32 v0, v0
	global_store_b32 v7, v0, s[12:13]
.LBB11_34:                              ;   in Loop: Header=BB11_9 Depth=1
	s_or_b32 exec_lo, exec_lo, s35
	v_add_co_u32 v7, vcc_lo, v13, s24
	v_add_co_ci_u32_e32 v8, vcc_lo, 0, v14, vcc_lo
	s_mov_b32 s35, exec_lo
	s_delay_alu instid0(VALU_DEP_1)
	v_cmpx_gt_i64_e64 s[16:17], v[7:8]
	s_cbranch_execz .LBB11_49
; %bb.35:                               ;   in Loop: Header=BB11_9 Depth=1
	s_and_not1_b32 vcc_lo, exec_lo, s11
	s_cbranch_vccnz .LBB11_41
; %bb.36:                               ;   in Loop: Header=BB11_9 Depth=1
	v_mov_b32_e32 v0, 0
	s_and_not1_b32 vcc_lo, exec_lo, s27
	s_cbranch_vccnz .LBB11_45
; %bb.37:                               ;   in Loop: Header=BB11_9 Depth=1
	s_and_not1_b32 vcc_lo, exec_lo, s30
	s_mov_b32 s20, 0
	s_cbranch_vccnz .LBB11_42
; %bb.38:                               ;   in Loop: Header=BB11_9 Depth=1
	v_mov_b32_e32 v0, 0
	v_mov_b32_e32 v8, v7
	s_mov_b32 s36, 0
	s_mov_b64 s[20:21], s[18:19]
	s_mov_b64 s[22:23], s[0:1]
.LBB11_39:                              ;   Parent Loop BB11_9 Depth=1
                                        ; =>  This Inner Loop Header: Depth=2
	s_clause 0x1
	s_load_b256 s[40:47], s[20:21], 0x4
	s_load_b128 s[48:51], s[20:21], 0x24
	s_load_b128 s[52:55], s[22:23], 0x0
	s_add_u32 s20, s20, 48
	s_addc_u32 s21, s21, 0
	s_add_i32 s36, s36, 4
	s_add_u32 s22, s22, 16
	s_addc_u32 s23, s23, 0
	s_cmp_eq_u32 s31, s36
	s_waitcnt lgkmcnt(0)
	v_mul_hi_u32 v9, s41, v8
	s_delay_alu instid0(VALU_DEP_1) | instskip(NEXT) | instid1(VALU_DEP_1)
	v_add_nc_u32_e32 v9, v8, v9
	v_lshrrev_b32_e32 v9, s42, v9
	s_delay_alu instid0(VALU_DEP_1) | instskip(SKIP_1) | instid1(VALU_DEP_2)
	v_mul_hi_u32 v10, s44, v9
	v_mul_lo_u32 v42, v9, s40
	v_add_nc_u32_e32 v10, v9, v10
	s_delay_alu instid0(VALU_DEP_2) | instskip(NEXT) | instid1(VALU_DEP_2)
	v_sub_nc_u32_e32 v42, v8, v42
	v_lshrrev_b32_e32 v10, s45, v10
	s_delay_alu instid0(VALU_DEP_2) | instskip(NEXT) | instid1(VALU_DEP_2)
	v_mul_lo_u32 v42, v42, s52
	v_mul_hi_u32 v16, s47, v10
	v_mul_lo_u32 v43, v10, s43
	s_delay_alu instid0(VALU_DEP_2) | instskip(NEXT) | instid1(VALU_DEP_2)
	v_add_nc_u32_e32 v16, v10, v16
	v_sub_nc_u32_e32 v9, v9, v43
	s_delay_alu instid0(VALU_DEP_2) | instskip(NEXT) | instid1(VALU_DEP_2)
	v_lshrrev_b32_e32 v16, s48, v16
	v_mul_lo_u32 v9, v9, s53
	s_delay_alu instid0(VALU_DEP_2) | instskip(NEXT) | instid1(VALU_DEP_2)
	v_mul_hi_u32 v41, s50, v16
	v_add3_u32 v0, v42, v0, v9
	s_delay_alu instid0(VALU_DEP_2) | instskip(NEXT) | instid1(VALU_DEP_1)
	v_add_nc_u32_e32 v41, v16, v41
	v_lshrrev_b32_e32 v8, s51, v41
	v_mul_lo_u32 v41, v16, s46
	s_delay_alu instid0(VALU_DEP_2) | instskip(NEXT) | instid1(VALU_DEP_2)
	v_mul_lo_u32 v44, v8, s49
	v_sub_nc_u32_e32 v10, v10, v41
	s_delay_alu instid0(VALU_DEP_2) | instskip(NEXT) | instid1(VALU_DEP_2)
	v_sub_nc_u32_e32 v16, v16, v44
	v_mul_lo_u32 v10, v10, s54
	s_delay_alu instid0(VALU_DEP_2) | instskip(NEXT) | instid1(VALU_DEP_1)
	v_mul_lo_u32 v16, v16, s55
	v_add3_u32 v0, v10, v0, v16
	s_cbranch_scc0 .LBB11_39
; %bb.40:                               ;   in Loop: Header=BB11_9 Depth=1
	s_mov_b32 s20, s31
	s_and_not1_b32 vcc_lo, exec_lo, s34
	s_cbranch_vccz .LBB11_43
	s_branch .LBB11_45
.LBB11_41:                              ;   in Loop: Header=BB11_9 Depth=1
                                        ; implicit-def: $vgpr0
	s_branch .LBB11_46
.LBB11_42:                              ;   in Loop: Header=BB11_9 Depth=1
	v_mov_b32_e32 v8, v7
	s_and_not1_b32 vcc_lo, exec_lo, s34
	s_cbranch_vccnz .LBB11_45
.LBB11_43:                              ;   in Loop: Header=BB11_9 Depth=1
	s_lshl_b32 s21, s20, 2
	s_mul_i32 s22, s20, 12
	s_add_u32 s20, s0, s21
	s_addc_u32 s21, s1, 0
	s_add_u32 s22, s18, s22
	s_addc_u32 s23, s19, 0
	s_mov_b32 s36, s29
	.p2align	6
.LBB11_44:                              ;   Parent Loop BB11_9 Depth=1
                                        ; =>  This Inner Loop Header: Depth=2
	s_clause 0x1
	s_load_b64 s[38:39], s[22:23], 0x4
	s_load_b32 s37, s[22:23], 0xc
	s_add_u32 s22, s22, 12
	s_addc_u32 s23, s23, 0
	s_waitcnt lgkmcnt(0)
	v_mul_hi_u32 v9, s39, v8
	s_load_b32 s39, s[20:21], 0x0
	s_add_u32 s20, s20, 4
	s_addc_u32 s21, s21, 0
	s_add_i32 s36, s36, -1
	s_delay_alu instid0(SALU_CYCLE_1) | instskip(NEXT) | instid1(VALU_DEP_1)
	s_cmp_lg_u32 s36, 0
	v_add_nc_u32_e32 v9, v8, v9
	s_delay_alu instid0(VALU_DEP_1) | instskip(NEXT) | instid1(VALU_DEP_1)
	v_lshrrev_b32_e32 v16, s37, v9
	v_mul_lo_u32 v9, v16, s38
	s_delay_alu instid0(VALU_DEP_1) | instskip(SKIP_1) | instid1(VALU_DEP_1)
	v_sub_nc_u32_e32 v8, v8, v9
	s_waitcnt lgkmcnt(0)
	v_mad_u64_u32 v[9:10], null, v8, s39, v[0:1]
	v_mov_b32_e32 v8, v16
	s_delay_alu instid0(VALU_DEP_2)
	v_mov_b32_e32 v0, v9
	s_cbranch_scc1 .LBB11_44
.LBB11_45:                              ;   in Loop: Header=BB11_9 Depth=1
	s_cbranch_execnz .LBB11_48
.LBB11_46:                              ;   in Loop: Header=BB11_9 Depth=1
	v_mul_hi_u32 v0, v7, s6
	s_and_not1_b32 vcc_lo, exec_lo, s4
	s_delay_alu instid0(VALU_DEP_1) | instskip(NEXT) | instid1(VALU_DEP_1)
	v_add_nc_u32_e32 v0, v0, v7
	v_lshrrev_b32_e32 v8, s7, v0
	s_delay_alu instid0(VALU_DEP_1) | instskip(NEXT) | instid1(VALU_DEP_1)
	v_mul_lo_u32 v0, v8, s5
	v_sub_nc_u32_e32 v0, v7, v0
	s_waitcnt lgkmcnt(0)
	s_delay_alu instid0(VALU_DEP_1)
	v_mul_lo_u32 v0, v0, s14
	s_cbranch_vccnz .LBB11_48
; %bb.47:                               ;   in Loop: Header=BB11_9 Depth=1
	v_mul_hi_u32 v7, s9, v8
	s_delay_alu instid0(VALU_DEP_1) | instskip(NEXT) | instid1(VALU_DEP_1)
	v_add_nc_u32_e32 v7, v8, v7
	v_lshrrev_b32_e32 v7, s10, v7
	s_delay_alu instid0(VALU_DEP_1) | instskip(NEXT) | instid1(VALU_DEP_1)
	v_mul_lo_u32 v7, v7, s8
	v_sub_nc_u32_e32 v9, v8, v7
	s_delay_alu instid0(VALU_DEP_1) | instskip(NEXT) | instid1(VALU_DEP_1)
	v_mad_u64_u32 v[7:8], null, v9, s15, v[0:1]
	v_mov_b32_e32 v0, v7
.LBB11_48:                              ;   in Loop: Header=BB11_9 Depth=1
	v_cvt_f32_u32_e32 v1, v1
	s_delay_alu instid0(VALU_DEP_1) | instskip(NEXT) | instid1(VALU_DEP_1)
	v_fmaak_f32 v1, 0x2f800000, v1, 0x2f800000
	v_cmp_gt_f32_e32 vcc_lo, 0x800000, v1
	v_cndmask_b32_e64 v7, 1.0, 0x4f800000, vcc_lo
	s_delay_alu instid0(VALU_DEP_1) | instskip(NEXT) | instid1(VALU_DEP_1)
	v_mul_f32_e32 v1, v1, v7
	v_log_f32_e32 v1, v1
	s_waitcnt_depctr 0xfff
	v_mul_f32_e32 v7, 0x3f317217, v1
	s_delay_alu instid0(VALU_DEP_1) | instskip(NEXT) | instid1(VALU_DEP_1)
	v_fma_f32 v8, 0x3f317217, v1, -v7
	v_fmac_f32_e32 v8, 0x3377d1cf, v1
	s_delay_alu instid0(VALU_DEP_1) | instskip(SKIP_2) | instid1(VALU_DEP_3)
	v_add_f32_e32 v7, v7, v8
	v_cndmask_b32_e64 v8, 0, 0x41b17218, vcc_lo
	v_cmp_gt_f32_e64 vcc_lo, 0x7f800000, |v1|
	v_cndmask_b32_e32 v1, v1, v7, vcc_lo
	s_delay_alu instid0(VALU_DEP_1) | instskip(NEXT) | instid1(VALU_DEP_1)
	v_sub_f32_e32 v1, v1, v8
	v_div_scale_f32 v7, null, v39, v39, v1
	s_delay_alu instid0(VALU_DEP_1) | instskip(SKIP_2) | instid1(VALU_DEP_1)
	v_rcp_f32_e32 v8, v7
	s_waitcnt_depctr 0xfff
	v_fma_f32 v9, -v7, v8, 1.0
	v_fmac_f32_e32 v8, v9, v8
	v_div_scale_f32 v9, vcc_lo, v1, v39, v1
	s_delay_alu instid0(VALU_DEP_1) | instskip(NEXT) | instid1(VALU_DEP_1)
	v_mul_f32_e32 v10, v9, v8
	v_fma_f32 v16, -v7, v10, v9
	s_delay_alu instid0(VALU_DEP_1) | instskip(NEXT) | instid1(VALU_DEP_1)
	v_fmac_f32_e32 v10, v16, v8
	v_fma_f32 v7, -v7, v10, v9
	s_delay_alu instid0(VALU_DEP_1) | instskip(NEXT) | instid1(VALU_DEP_1)
	v_div_fmas_f32 v7, v7, v8, v10
	v_div_fixup_f32 v1, v7, v39, v1
	s_delay_alu instid0(VALU_DEP_1) | instskip(NEXT) | instid1(VALU_DEP_1)
	v_ceil_f32_e32 v1, v1
	v_cvt_i32_f32_e32 v1, v1
	global_store_b32 v0, v1, s[12:13]
.LBB11_49:                              ;   in Loop: Header=BB11_9 Depth=1
	s_or_b32 exec_lo, exec_lo, s35
	v_add_co_u32 v0, vcc_lo, v13, s28
	v_add_co_ci_u32_e32 v1, vcc_lo, 0, v14, vcc_lo
	s_mov_b32 s35, exec_lo
	s_delay_alu instid0(VALU_DEP_1)
	v_cmpx_gt_i64_e64 s[16:17], v[0:1]
	s_cbranch_execz .LBB11_64
; %bb.50:                               ;   in Loop: Header=BB11_9 Depth=1
	s_and_not1_b32 vcc_lo, exec_lo, s11
	s_cbranch_vccnz .LBB11_56
; %bb.51:                               ;   in Loop: Header=BB11_9 Depth=1
	v_mov_b32_e32 v1, 0
	s_and_not1_b32 vcc_lo, exec_lo, s27
	s_cbranch_vccnz .LBB11_60
; %bb.52:                               ;   in Loop: Header=BB11_9 Depth=1
	s_and_not1_b32 vcc_lo, exec_lo, s30
	s_mov_b32 s20, 0
	s_cbranch_vccnz .LBB11_57
; %bb.53:                               ;   in Loop: Header=BB11_9 Depth=1
	v_mov_b32_e32 v1, 0
	v_mov_b32_e32 v7, v0
	s_mov_b32 s36, 0
	s_mov_b64 s[20:21], s[18:19]
	s_mov_b64 s[22:23], s[0:1]
.LBB11_54:                              ;   Parent Loop BB11_9 Depth=1
                                        ; =>  This Inner Loop Header: Depth=2
	s_clause 0x1
	s_load_b256 s[40:47], s[20:21], 0x4
	s_load_b128 s[48:51], s[20:21], 0x24
	s_load_b128 s[52:55], s[22:23], 0x0
	s_add_u32 s20, s20, 48
	s_addc_u32 s21, s21, 0
	s_add_i32 s36, s36, 4
	s_add_u32 s22, s22, 16
	s_addc_u32 s23, s23, 0
	s_cmp_eq_u32 s31, s36
	s_waitcnt lgkmcnt(0)
	v_mul_hi_u32 v8, s41, v7
	s_delay_alu instid0(VALU_DEP_1) | instskip(NEXT) | instid1(VALU_DEP_1)
	v_add_nc_u32_e32 v8, v7, v8
	v_lshrrev_b32_e32 v8, s42, v8
	s_delay_alu instid0(VALU_DEP_1) | instskip(SKIP_1) | instid1(VALU_DEP_2)
	v_mul_hi_u32 v9, s44, v8
	v_mul_lo_u32 v41, v8, s40
	v_add_nc_u32_e32 v9, v8, v9
	s_delay_alu instid0(VALU_DEP_2) | instskip(NEXT) | instid1(VALU_DEP_2)
	v_sub_nc_u32_e32 v41, v7, v41
	v_lshrrev_b32_e32 v9, s45, v9
	s_delay_alu instid0(VALU_DEP_2) | instskip(NEXT) | instid1(VALU_DEP_2)
	v_mul_lo_u32 v41, v41, s52
	v_mul_hi_u32 v10, s47, v9
	v_mul_lo_u32 v42, v9, s43
	s_delay_alu instid0(VALU_DEP_2) | instskip(NEXT) | instid1(VALU_DEP_2)
	v_add_nc_u32_e32 v10, v9, v10
	v_sub_nc_u32_e32 v8, v8, v42
	s_delay_alu instid0(VALU_DEP_2) | instskip(NEXT) | instid1(VALU_DEP_2)
	v_lshrrev_b32_e32 v10, s48, v10
	v_mul_lo_u32 v8, v8, s53
	s_delay_alu instid0(VALU_DEP_2) | instskip(NEXT) | instid1(VALU_DEP_2)
	v_mul_hi_u32 v16, s50, v10
	v_add3_u32 v1, v41, v1, v8
	s_delay_alu instid0(VALU_DEP_2) | instskip(NEXT) | instid1(VALU_DEP_1)
	v_add_nc_u32_e32 v16, v10, v16
	v_lshrrev_b32_e32 v7, s51, v16
	v_mul_lo_u32 v16, v10, s46
	s_delay_alu instid0(VALU_DEP_2) | instskip(NEXT) | instid1(VALU_DEP_2)
	v_mul_lo_u32 v43, v7, s49
	v_sub_nc_u32_e32 v9, v9, v16
	s_delay_alu instid0(VALU_DEP_2) | instskip(NEXT) | instid1(VALU_DEP_2)
	v_sub_nc_u32_e32 v10, v10, v43
	v_mul_lo_u32 v9, v9, s54
	s_delay_alu instid0(VALU_DEP_2) | instskip(NEXT) | instid1(VALU_DEP_1)
	v_mul_lo_u32 v10, v10, s55
	v_add3_u32 v1, v9, v1, v10
	s_cbranch_scc0 .LBB11_54
; %bb.55:                               ;   in Loop: Header=BB11_9 Depth=1
	s_mov_b32 s20, s31
	s_and_not1_b32 vcc_lo, exec_lo, s34
	s_cbranch_vccz .LBB11_58
	s_branch .LBB11_60
.LBB11_56:                              ;   in Loop: Header=BB11_9 Depth=1
                                        ; implicit-def: $vgpr1
	s_branch .LBB11_61
.LBB11_57:                              ;   in Loop: Header=BB11_9 Depth=1
	v_mov_b32_e32 v7, v0
	s_and_not1_b32 vcc_lo, exec_lo, s34
	s_cbranch_vccnz .LBB11_60
.LBB11_58:                              ;   in Loop: Header=BB11_9 Depth=1
	s_lshl_b32 s21, s20, 2
	s_mul_i32 s22, s20, 12
	s_add_u32 s20, s0, s21
	s_addc_u32 s21, s1, 0
	s_add_u32 s22, s18, s22
	s_addc_u32 s23, s19, 0
	s_mov_b32 s36, s29
	.p2align	6
.LBB11_59:                              ;   Parent Loop BB11_9 Depth=1
                                        ; =>  This Inner Loop Header: Depth=2
	s_clause 0x1
	s_load_b64 s[38:39], s[22:23], 0x4
	s_load_b32 s37, s[22:23], 0xc
	s_add_u32 s22, s22, 12
	s_addc_u32 s23, s23, 0
	s_waitcnt lgkmcnt(0)
	v_mul_hi_u32 v8, s39, v7
	s_load_b32 s39, s[20:21], 0x0
	s_add_u32 s20, s20, 4
	s_addc_u32 s21, s21, 0
	s_add_i32 s36, s36, -1
	s_delay_alu instid0(SALU_CYCLE_1) | instskip(NEXT) | instid1(VALU_DEP_1)
	s_cmp_lg_u32 s36, 0
	v_add_nc_u32_e32 v8, v7, v8
	s_delay_alu instid0(VALU_DEP_1) | instskip(NEXT) | instid1(VALU_DEP_1)
	v_lshrrev_b32_e32 v10, s37, v8
	v_mul_lo_u32 v8, v10, s38
	s_delay_alu instid0(VALU_DEP_1) | instskip(SKIP_1) | instid1(VALU_DEP_1)
	v_sub_nc_u32_e32 v7, v7, v8
	s_waitcnt lgkmcnt(0)
	v_mad_u64_u32 v[8:9], null, v7, s39, v[1:2]
	v_mov_b32_e32 v7, v10
	s_delay_alu instid0(VALU_DEP_2)
	v_mov_b32_e32 v1, v8
	s_cbranch_scc1 .LBB11_59
.LBB11_60:                              ;   in Loop: Header=BB11_9 Depth=1
	s_cbranch_execnz .LBB11_63
.LBB11_61:                              ;   in Loop: Header=BB11_9 Depth=1
	v_mul_hi_u32 v1, v0, s6
	s_and_not1_b32 vcc_lo, exec_lo, s4
	s_delay_alu instid0(VALU_DEP_1) | instskip(NEXT) | instid1(VALU_DEP_1)
	v_add_nc_u32_e32 v1, v1, v0
	v_lshrrev_b32_e32 v7, s7, v1
	s_delay_alu instid0(VALU_DEP_1) | instskip(NEXT) | instid1(VALU_DEP_1)
	v_mul_lo_u32 v1, v7, s5
	v_sub_nc_u32_e32 v0, v0, v1
	s_waitcnt lgkmcnt(0)
	s_delay_alu instid0(VALU_DEP_1)
	v_mul_lo_u32 v1, v0, s14
	s_cbranch_vccnz .LBB11_63
; %bb.62:                               ;   in Loop: Header=BB11_9 Depth=1
	v_mul_hi_u32 v0, s9, v7
	s_delay_alu instid0(VALU_DEP_1) | instskip(NEXT) | instid1(VALU_DEP_1)
	v_add_nc_u32_e32 v0, v7, v0
	v_lshrrev_b32_e32 v0, s10, v0
	s_delay_alu instid0(VALU_DEP_1) | instskip(NEXT) | instid1(VALU_DEP_1)
	v_mul_lo_u32 v0, v0, s8
	v_sub_nc_u32_e32 v0, v7, v0
	s_delay_alu instid0(VALU_DEP_1) | instskip(NEXT) | instid1(VALU_DEP_1)
	v_mad_u64_u32 v[7:8], null, v0, s15, v[1:2]
	v_mov_b32_e32 v1, v7
.LBB11_63:                              ;   in Loop: Header=BB11_9 Depth=1
	v_cvt_f32_u32_e32 v0, v2
	s_delay_alu instid0(VALU_DEP_1) | instskip(NEXT) | instid1(VALU_DEP_1)
	v_fmaak_f32 v0, 0x2f800000, v0, 0x2f800000
	v_cmp_gt_f32_e32 vcc_lo, 0x800000, v0
	v_cndmask_b32_e64 v2, 1.0, 0x4f800000, vcc_lo
	s_delay_alu instid0(VALU_DEP_1) | instskip(NEXT) | instid1(VALU_DEP_1)
	v_mul_f32_e32 v0, v0, v2
	v_log_f32_e32 v0, v0
	s_waitcnt_depctr 0xfff
	v_mul_f32_e32 v2, 0x3f317217, v0
	s_delay_alu instid0(VALU_DEP_1) | instskip(NEXT) | instid1(VALU_DEP_1)
	v_fma_f32 v7, 0x3f317217, v0, -v2
	v_fmac_f32_e32 v7, 0x3377d1cf, v0
	s_delay_alu instid0(VALU_DEP_1) | instskip(SKIP_2) | instid1(VALU_DEP_3)
	v_add_f32_e32 v2, v2, v7
	v_cndmask_b32_e64 v7, 0, 0x41b17218, vcc_lo
	v_cmp_gt_f32_e64 vcc_lo, 0x7f800000, |v0|
	v_cndmask_b32_e32 v0, v0, v2, vcc_lo
	s_delay_alu instid0(VALU_DEP_1) | instskip(NEXT) | instid1(VALU_DEP_1)
	v_sub_f32_e32 v0, v0, v7
	v_div_scale_f32 v2, null, v39, v39, v0
	s_delay_alu instid0(VALU_DEP_1) | instskip(SKIP_2) | instid1(VALU_DEP_1)
	v_rcp_f32_e32 v7, v2
	s_waitcnt_depctr 0xfff
	v_fma_f32 v8, -v2, v7, 1.0
	v_fmac_f32_e32 v7, v8, v7
	v_div_scale_f32 v8, vcc_lo, v0, v39, v0
	s_delay_alu instid0(VALU_DEP_1) | instskip(NEXT) | instid1(VALU_DEP_1)
	v_mul_f32_e32 v9, v8, v7
	v_fma_f32 v10, -v2, v9, v8
	s_delay_alu instid0(VALU_DEP_1) | instskip(NEXT) | instid1(VALU_DEP_1)
	v_fmac_f32_e32 v9, v10, v7
	v_fma_f32 v2, -v2, v9, v8
	s_delay_alu instid0(VALU_DEP_1) | instskip(NEXT) | instid1(VALU_DEP_1)
	v_div_fmas_f32 v2, v2, v7, v9
	v_div_fixup_f32 v0, v2, v39, v0
	s_delay_alu instid0(VALU_DEP_1) | instskip(NEXT) | instid1(VALU_DEP_1)
	v_ceil_f32_e32 v0, v0
	v_cvt_i32_f32_e32 v0, v0
	global_store_b32 v1, v0, s[12:13]
.LBB11_64:                              ;   in Loop: Header=BB11_9 Depth=1
	s_or_b32 exec_lo, exec_lo, s35
	v_add_co_u32 v0, vcc_lo, v13, s33
	v_add_co_ci_u32_e32 v1, vcc_lo, 0, v14, vcc_lo
	s_mov_b32 s35, exec_lo
	s_delay_alu instid0(VALU_DEP_1)
	v_cmpx_gt_i64_e64 s[16:17], v[0:1]
	s_cbranch_execz .LBB11_8
; %bb.65:                               ;   in Loop: Header=BB11_9 Depth=1
	s_and_not1_b32 vcc_lo, exec_lo, s11
	s_cbranch_vccnz .LBB11_71
; %bb.66:                               ;   in Loop: Header=BB11_9 Depth=1
	v_mov_b32_e32 v1, 0
	s_and_not1_b32 vcc_lo, exec_lo, s27
	s_cbranch_vccnz .LBB11_75
; %bb.67:                               ;   in Loop: Header=BB11_9 Depth=1
	s_and_not1_b32 vcc_lo, exec_lo, s30
	s_mov_b32 s20, 0
	s_cbranch_vccnz .LBB11_72
; %bb.68:                               ;   in Loop: Header=BB11_9 Depth=1
	v_dual_mov_b32 v1, 0 :: v_dual_mov_b32 v2, v0
	s_mov_b32 s36, 0
	s_mov_b64 s[20:21], s[18:19]
	s_mov_b64 s[22:23], s[0:1]
.LBB11_69:                              ;   Parent Loop BB11_9 Depth=1
                                        ; =>  This Inner Loop Header: Depth=2
	s_clause 0x1
	s_load_b256 s[40:47], s[20:21], 0x4
	s_load_b128 s[48:51], s[20:21], 0x24
	s_load_b128 s[52:55], s[22:23], 0x0
	s_add_u32 s20, s20, 48
	s_addc_u32 s21, s21, 0
	s_add_i32 s36, s36, 4
	s_add_u32 s22, s22, 16
	s_addc_u32 s23, s23, 0
	s_cmp_eq_u32 s31, s36
	s_waitcnt lgkmcnt(0)
	v_mul_hi_u32 v7, s41, v2
	s_delay_alu instid0(VALU_DEP_1) | instskip(NEXT) | instid1(VALU_DEP_1)
	v_add_nc_u32_e32 v7, v2, v7
	v_lshrrev_b32_e32 v7, s42, v7
	s_delay_alu instid0(VALU_DEP_1) | instskip(SKIP_1) | instid1(VALU_DEP_2)
	v_mul_hi_u32 v8, s44, v7
	v_mul_lo_u32 v16, v7, s40
	v_add_nc_u32_e32 v8, v7, v8
	s_delay_alu instid0(VALU_DEP_2) | instskip(NEXT) | instid1(VALU_DEP_2)
	v_sub_nc_u32_e32 v16, v2, v16
	v_lshrrev_b32_e32 v8, s45, v8
	s_delay_alu instid0(VALU_DEP_2) | instskip(NEXT) | instid1(VALU_DEP_2)
	v_mul_lo_u32 v16, v16, s52
	v_mul_hi_u32 v9, s47, v8
	v_mul_lo_u32 v41, v8, s43
	s_delay_alu instid0(VALU_DEP_2) | instskip(NEXT) | instid1(VALU_DEP_2)
	v_add_nc_u32_e32 v9, v8, v9
	v_sub_nc_u32_e32 v7, v7, v41
	s_delay_alu instid0(VALU_DEP_2) | instskip(NEXT) | instid1(VALU_DEP_2)
	v_lshrrev_b32_e32 v9, s48, v9
	v_mul_lo_u32 v7, v7, s53
	s_delay_alu instid0(VALU_DEP_2) | instskip(NEXT) | instid1(VALU_DEP_2)
	v_mul_hi_u32 v10, s50, v9
	v_add3_u32 v1, v16, v1, v7
	s_delay_alu instid0(VALU_DEP_2) | instskip(NEXT) | instid1(VALU_DEP_1)
	v_add_nc_u32_e32 v10, v9, v10
	v_lshrrev_b32_e32 v2, s51, v10
	v_mul_lo_u32 v10, v9, s46
	s_delay_alu instid0(VALU_DEP_2) | instskip(NEXT) | instid1(VALU_DEP_2)
	v_mul_lo_u32 v42, v2, s49
	v_sub_nc_u32_e32 v8, v8, v10
	s_delay_alu instid0(VALU_DEP_2) | instskip(NEXT) | instid1(VALU_DEP_2)
	v_sub_nc_u32_e32 v9, v9, v42
	v_mul_lo_u32 v8, v8, s54
	s_delay_alu instid0(VALU_DEP_2) | instskip(NEXT) | instid1(VALU_DEP_1)
	v_mul_lo_u32 v9, v9, s55
	v_add3_u32 v1, v8, v1, v9
	s_cbranch_scc0 .LBB11_69
; %bb.70:                               ;   in Loop: Header=BB11_9 Depth=1
	s_mov_b32 s20, s31
	s_and_not1_b32 vcc_lo, exec_lo, s34
	s_cbranch_vccz .LBB11_73
	s_branch .LBB11_75
.LBB11_71:                              ;   in Loop: Header=BB11_9 Depth=1
                                        ; implicit-def: $vgpr1
	s_branch .LBB11_76
.LBB11_72:                              ;   in Loop: Header=BB11_9 Depth=1
	v_mov_b32_e32 v2, v0
	s_and_not1_b32 vcc_lo, exec_lo, s34
	s_cbranch_vccnz .LBB11_75
.LBB11_73:                              ;   in Loop: Header=BB11_9 Depth=1
	s_lshl_b32 s21, s20, 2
	s_mul_i32 s22, s20, 12
	s_add_u32 s20, s0, s21
	s_addc_u32 s21, s1, 0
	s_add_u32 s22, s18, s22
	s_addc_u32 s23, s19, 0
	s_mov_b32 s36, s29
	.p2align	6
.LBB11_74:                              ;   Parent Loop BB11_9 Depth=1
                                        ; =>  This Inner Loop Header: Depth=2
	s_clause 0x1
	s_load_b64 s[38:39], s[22:23], 0x4
	s_load_b32 s37, s[22:23], 0xc
	s_add_u32 s22, s22, 12
	s_addc_u32 s23, s23, 0
	s_waitcnt lgkmcnt(0)
	v_mul_hi_u32 v7, s39, v2
	s_load_b32 s39, s[20:21], 0x0
	s_add_u32 s20, s20, 4
	s_addc_u32 s21, s21, 0
	s_add_i32 s36, s36, -1
	s_delay_alu instid0(SALU_CYCLE_1) | instskip(NEXT) | instid1(VALU_DEP_1)
	s_cmp_lg_u32 s36, 0
	v_add_nc_u32_e32 v7, v2, v7
	s_delay_alu instid0(VALU_DEP_1) | instskip(NEXT) | instid1(VALU_DEP_1)
	v_lshrrev_b32_e32 v9, s37, v7
	v_mul_lo_u32 v7, v9, s38
	s_delay_alu instid0(VALU_DEP_1) | instskip(SKIP_1) | instid1(VALU_DEP_1)
	v_sub_nc_u32_e32 v2, v2, v7
	s_waitcnt lgkmcnt(0)
	v_mad_u64_u32 v[7:8], null, v2, s39, v[1:2]
	s_delay_alu instid0(VALU_DEP_1)
	v_dual_mov_b32 v2, v9 :: v_dual_mov_b32 v1, v7
	s_cbranch_scc1 .LBB11_74
.LBB11_75:                              ;   in Loop: Header=BB11_9 Depth=1
	s_cbranch_execnz .LBB11_7
.LBB11_76:                              ;   in Loop: Header=BB11_9 Depth=1
	v_mul_hi_u32 v1, v0, s6
	s_and_not1_b32 vcc_lo, exec_lo, s4
	s_delay_alu instid0(VALU_DEP_1) | instskip(NEXT) | instid1(VALU_DEP_1)
	v_add_nc_u32_e32 v1, v1, v0
	v_lshrrev_b32_e32 v2, s7, v1
	s_delay_alu instid0(VALU_DEP_1) | instskip(NEXT) | instid1(VALU_DEP_1)
	v_mul_lo_u32 v1, v2, s5
	v_sub_nc_u32_e32 v0, v0, v1
	s_waitcnt lgkmcnt(0)
	s_delay_alu instid0(VALU_DEP_1)
	v_mul_lo_u32 v1, v0, s14
	s_cbranch_vccnz .LBB11_7
; %bb.77:                               ;   in Loop: Header=BB11_9 Depth=1
	v_mul_hi_u32 v0, s9, v2
	s_delay_alu instid0(VALU_DEP_1) | instskip(NEXT) | instid1(VALU_DEP_1)
	v_add_nc_u32_e32 v0, v2, v0
	v_lshrrev_b32_e32 v0, s10, v0
	s_delay_alu instid0(VALU_DEP_1) | instskip(NEXT) | instid1(VALU_DEP_1)
	v_mul_lo_u32 v0, v0, s8
	v_sub_nc_u32_e32 v0, v2, v0
	s_delay_alu instid0(VALU_DEP_1) | instskip(NEXT) | instid1(VALU_DEP_1)
	v_mad_u64_u32 v[7:8], null, v0, s15, v[1:2]
	v_mov_b32_e32 v1, v7
	s_branch .LBB11_7
.LBB11_78:
	s_endpgm
.LBB11_79:
                                        ; implicit-def: $sgpr2_sgpr3
	s_branch .LBB11_4
	.section	.rodata,"a",@progbits
	.p2align	6, 0x0
	.amdhsa_kernel _ZN2at6native12_GLOBAL__N_143distribution_elementwise_grid_stride_kernelIfLi4EZNS0_9templates4cuda21uniform_and_transformIifPNS_17CUDAGeneratorImplEZZZNS4_16geometric_kernelIS7_EEvRNS_18TensorIteratorBaseEdT_ENKUlvE_clEvENKUlvE1_clEvEUlfE_EEvSA_T1_T2_EUlP25hiprandStatePhilox4_32_10E0_ZNS1_27distribution_nullary_kernelIif15HIP_vector_typeIfLj4EES7_SJ_SE_EEvSA_SG_RKT3_T4_EUlifE0_EEvlNS_15PhiloxCudaStateESF_SG_
		.amdhsa_group_segment_fixed_size 0
		.amdhsa_private_segment_fixed_size 0
		.amdhsa_kernarg_size 584
		.amdhsa_user_sgpr_count 15
		.amdhsa_user_sgpr_dispatch_ptr 0
		.amdhsa_user_sgpr_queue_ptr 0
		.amdhsa_user_sgpr_kernarg_segment_ptr 1
		.amdhsa_user_sgpr_dispatch_id 0
		.amdhsa_user_sgpr_private_segment_size 0
		.amdhsa_wavefront_size32 1
		.amdhsa_uses_dynamic_stack 0
		.amdhsa_enable_private_segment 0
		.amdhsa_system_sgpr_workgroup_id_x 1
		.amdhsa_system_sgpr_workgroup_id_y 0
		.amdhsa_system_sgpr_workgroup_id_z 0
		.amdhsa_system_sgpr_workgroup_info 0
		.amdhsa_system_vgpr_workitem_id 0
		.amdhsa_next_free_vgpr 45
		.amdhsa_next_free_sgpr 56
		.amdhsa_reserve_vcc 1
		.amdhsa_float_round_mode_32 0
		.amdhsa_float_round_mode_16_64 0
		.amdhsa_float_denorm_mode_32 3
		.amdhsa_float_denorm_mode_16_64 3
		.amdhsa_dx10_clamp 1
		.amdhsa_ieee_mode 1
		.amdhsa_fp16_overflow 0
		.amdhsa_workgroup_processor_mode 1
		.amdhsa_memory_ordered 1
		.amdhsa_forward_progress 0
		.amdhsa_shared_vgpr_count 0
		.amdhsa_exception_fp_ieee_invalid_op 0
		.amdhsa_exception_fp_denorm_src 0
		.amdhsa_exception_fp_ieee_div_zero 0
		.amdhsa_exception_fp_ieee_overflow 0
		.amdhsa_exception_fp_ieee_underflow 0
		.amdhsa_exception_fp_ieee_inexact 0
		.amdhsa_exception_int_div_zero 0
	.end_amdhsa_kernel
	.section	.text._ZN2at6native12_GLOBAL__N_143distribution_elementwise_grid_stride_kernelIfLi4EZNS0_9templates4cuda21uniform_and_transformIifPNS_17CUDAGeneratorImplEZZZNS4_16geometric_kernelIS7_EEvRNS_18TensorIteratorBaseEdT_ENKUlvE_clEvENKUlvE1_clEvEUlfE_EEvSA_T1_T2_EUlP25hiprandStatePhilox4_32_10E0_ZNS1_27distribution_nullary_kernelIif15HIP_vector_typeIfLj4EES7_SJ_SE_EEvSA_SG_RKT3_T4_EUlifE0_EEvlNS_15PhiloxCudaStateESF_SG_,"axG",@progbits,_ZN2at6native12_GLOBAL__N_143distribution_elementwise_grid_stride_kernelIfLi4EZNS0_9templates4cuda21uniform_and_transformIifPNS_17CUDAGeneratorImplEZZZNS4_16geometric_kernelIS7_EEvRNS_18TensorIteratorBaseEdT_ENKUlvE_clEvENKUlvE1_clEvEUlfE_EEvSA_T1_T2_EUlP25hiprandStatePhilox4_32_10E0_ZNS1_27distribution_nullary_kernelIif15HIP_vector_typeIfLj4EES7_SJ_SE_EEvSA_SG_RKT3_T4_EUlifE0_EEvlNS_15PhiloxCudaStateESF_SG_,comdat
.Lfunc_end11:
	.size	_ZN2at6native12_GLOBAL__N_143distribution_elementwise_grid_stride_kernelIfLi4EZNS0_9templates4cuda21uniform_and_transformIifPNS_17CUDAGeneratorImplEZZZNS4_16geometric_kernelIS7_EEvRNS_18TensorIteratorBaseEdT_ENKUlvE_clEvENKUlvE1_clEvEUlfE_EEvSA_T1_T2_EUlP25hiprandStatePhilox4_32_10E0_ZNS1_27distribution_nullary_kernelIif15HIP_vector_typeIfLj4EES7_SJ_SE_EEvSA_SG_RKT3_T4_EUlifE0_EEvlNS_15PhiloxCudaStateESF_SG_, .Lfunc_end11-_ZN2at6native12_GLOBAL__N_143distribution_elementwise_grid_stride_kernelIfLi4EZNS0_9templates4cuda21uniform_and_transformIifPNS_17CUDAGeneratorImplEZZZNS4_16geometric_kernelIS7_EEvRNS_18TensorIteratorBaseEdT_ENKUlvE_clEvENKUlvE1_clEvEUlfE_EEvSA_T1_T2_EUlP25hiprandStatePhilox4_32_10E0_ZNS1_27distribution_nullary_kernelIif15HIP_vector_typeIfLj4EES7_SJ_SE_EEvSA_SG_RKT3_T4_EUlifE0_EEvlNS_15PhiloxCudaStateESF_SG_
                                        ; -- End function
	.section	.AMDGPU.csdata,"",@progbits
; Kernel info:
; codeLenInByte = 6756
; NumSgprs: 58
; NumVgprs: 45
; ScratchSize: 0
; MemoryBound: 0
; FloatMode: 240
; IeeeMode: 1
; LDSByteSize: 0 bytes/workgroup (compile time only)
; SGPRBlocks: 7
; VGPRBlocks: 5
; NumSGPRsForWavesPerEU: 58
; NumVGPRsForWavesPerEU: 45
; Occupancy: 16
; WaveLimiterHint : 1
; COMPUTE_PGM_RSRC2:SCRATCH_EN: 0
; COMPUTE_PGM_RSRC2:USER_SGPR: 15
; COMPUTE_PGM_RSRC2:TRAP_HANDLER: 0
; COMPUTE_PGM_RSRC2:TGID_X_EN: 1
; COMPUTE_PGM_RSRC2:TGID_Y_EN: 0
; COMPUTE_PGM_RSRC2:TGID_Z_EN: 0
; COMPUTE_PGM_RSRC2:TIDIG_COMP_CNT: 0
	.section	.text._ZN2at6native12_GLOBAL__N_143distribution_elementwise_grid_stride_kernelIfLi4EZNS0_9templates4cuda21uniform_and_transformIlfPNS_17CUDAGeneratorImplEZZZNS4_16geometric_kernelIS7_EEvRNS_18TensorIteratorBaseEdT_ENKUlvE_clEvENKUlvE2_clEvEUlfE_EEvSA_T1_T2_EUlP25hiprandStatePhilox4_32_10E_ZNS1_27distribution_nullary_kernelIlf15HIP_vector_typeIdLj2EES7_SJ_SE_EEvSA_SG_RKT3_T4_EUlifE_EEvlNS_15PhiloxCudaStateESF_SG_,"axG",@progbits,_ZN2at6native12_GLOBAL__N_143distribution_elementwise_grid_stride_kernelIfLi4EZNS0_9templates4cuda21uniform_and_transformIlfPNS_17CUDAGeneratorImplEZZZNS4_16geometric_kernelIS7_EEvRNS_18TensorIteratorBaseEdT_ENKUlvE_clEvENKUlvE2_clEvEUlfE_EEvSA_T1_T2_EUlP25hiprandStatePhilox4_32_10E_ZNS1_27distribution_nullary_kernelIlf15HIP_vector_typeIdLj2EES7_SJ_SE_EEvSA_SG_RKT3_T4_EUlifE_EEvlNS_15PhiloxCudaStateESF_SG_,comdat
	.globl	_ZN2at6native12_GLOBAL__N_143distribution_elementwise_grid_stride_kernelIfLi4EZNS0_9templates4cuda21uniform_and_transformIlfPNS_17CUDAGeneratorImplEZZZNS4_16geometric_kernelIS7_EEvRNS_18TensorIteratorBaseEdT_ENKUlvE_clEvENKUlvE2_clEvEUlfE_EEvSA_T1_T2_EUlP25hiprandStatePhilox4_32_10E_ZNS1_27distribution_nullary_kernelIlf15HIP_vector_typeIdLj2EES7_SJ_SE_EEvSA_SG_RKT3_T4_EUlifE_EEvlNS_15PhiloxCudaStateESF_SG_ ; -- Begin function _ZN2at6native12_GLOBAL__N_143distribution_elementwise_grid_stride_kernelIfLi4EZNS0_9templates4cuda21uniform_and_transformIlfPNS_17CUDAGeneratorImplEZZZNS4_16geometric_kernelIS7_EEvRNS_18TensorIteratorBaseEdT_ENKUlvE_clEvENKUlvE2_clEvEUlfE_EEvSA_T1_T2_EUlP25hiprandStatePhilox4_32_10E_ZNS1_27distribution_nullary_kernelIlf15HIP_vector_typeIdLj2EES7_SJ_SE_EEvSA_SG_RKT3_T4_EUlifE_EEvlNS_15PhiloxCudaStateESF_SG_
	.p2align	8
	.type	_ZN2at6native12_GLOBAL__N_143distribution_elementwise_grid_stride_kernelIfLi4EZNS0_9templates4cuda21uniform_and_transformIlfPNS_17CUDAGeneratorImplEZZZNS4_16geometric_kernelIS7_EEvRNS_18TensorIteratorBaseEdT_ENKUlvE_clEvENKUlvE2_clEvEUlfE_EEvSA_T1_T2_EUlP25hiprandStatePhilox4_32_10E_ZNS1_27distribution_nullary_kernelIlf15HIP_vector_typeIdLj2EES7_SJ_SE_EEvSA_SG_RKT3_T4_EUlifE_EEvlNS_15PhiloxCudaStateESF_SG_,@function
_ZN2at6native12_GLOBAL__N_143distribution_elementwise_grid_stride_kernelIfLi4EZNS0_9templates4cuda21uniform_and_transformIlfPNS_17CUDAGeneratorImplEZZZNS4_16geometric_kernelIS7_EEvRNS_18TensorIteratorBaseEdT_ENKUlvE_clEvENKUlvE2_clEvEUlfE_EEvSA_T1_T2_EUlP25hiprandStatePhilox4_32_10E_ZNS1_27distribution_nullary_kernelIlf15HIP_vector_typeIdLj2EES7_SJ_SE_EEvSA_SG_RKT3_T4_EUlifE_EEvlNS_15PhiloxCudaStateESF_SG_: ; @_ZN2at6native12_GLOBAL__N_143distribution_elementwise_grid_stride_kernelIfLi4EZNS0_9templates4cuda21uniform_and_transformIlfPNS_17CUDAGeneratorImplEZZZNS4_16geometric_kernelIS7_EEvRNS_18TensorIteratorBaseEdT_ENKUlvE_clEvENKUlvE2_clEvEUlfE_EEvSA_T1_T2_EUlP25hiprandStatePhilox4_32_10E_ZNS1_27distribution_nullary_kernelIlf15HIP_vector_typeIdLj2EES7_SJ_SE_EEvSA_SG_RKT3_T4_EUlifE_EEvlNS_15PhiloxCudaStateESF_SG_
; %bb.0:
	s_clause 0x2
	s_load_b64 s[8:9], s[0:1], 0x10
	s_load_b128 s[4:7], s[0:1], 0x0
	s_load_b32 s2, s[0:1], 0x20
	s_waitcnt lgkmcnt(0)
	v_dual_mov_b32 v2, s8 :: v_dual_mov_b32 v3, s9
	v_dual_mov_b32 v9, s7 :: v_dual_mov_b32 v8, s6
	s_bitcmp0_b32 s2, 0
	s_mov_b32 s2, 0
	s_cbranch_scc1 .LBB12_2
; %bb.1:
	v_dual_mov_b32 v1, s8 :: v_dual_mov_b32 v2, s9
	v_dual_mov_b32 v4, s6 :: v_dual_mov_b32 v5, s7
	s_load_b64 s[6:7], s[0:1], 0x18
	flat_load_b64 v[2:3], v[1:2]
	flat_load_b64 v[8:9], v[4:5]
	s_waitcnt vmcnt(1) lgkmcnt(0)
	v_add_co_u32 v2, vcc_lo, v2, s6
	v_add_co_ci_u32_e32 v3, vcc_lo, s7, v3, vcc_lo
.LBB12_2:
	s_clause 0x1
	s_load_b32 s3, s[0:1], 0x54
	s_load_b32 s11, s[0:1], 0x48
	s_waitcnt lgkmcnt(0)
	s_and_b32 s10, s3, 0xffff
	s_add_u32 s6, s4, -1
	s_mul_i32 s8, s11, s10
	s_addc_u32 s3, s5, -1
	s_lshl_b32 s9, s8, 2
	s_cmp_lg_u64 s[2:3], 0
	s_cbranch_scc0 .LBB12_27
; %bb.3:
	v_cvt_f32_ubyte0_e32 v1, 0
	v_cvt_f32_u32_e32 v4, s9
	s_sub_u32 s12, 0, s9
	s_subb_u32 s13, 0, 0
	s_delay_alu instid0(VALU_DEP_1) | instskip(NEXT) | instid1(VALU_DEP_1)
	v_fmamk_f32 v1, v1, 0x4f800000, v4
	v_rcp_f32_e32 v1, v1
	s_waitcnt_depctr 0xfff
	v_mul_f32_e32 v1, 0x5f7ffffc, v1
	s_delay_alu instid0(VALU_DEP_1) | instskip(NEXT) | instid1(VALU_DEP_1)
	v_mul_f32_e32 v4, 0x2f800000, v1
	v_trunc_f32_e32 v4, v4
	s_delay_alu instid0(VALU_DEP_1) | instskip(SKIP_1) | instid1(VALU_DEP_2)
	v_fmamk_f32 v1, v4, 0xcf800000, v1
	v_cvt_u32_f32_e32 v4, v4
	v_cvt_u32_f32_e32 v1, v1
	s_delay_alu instid0(VALU_DEP_2) | instskip(NEXT) | instid1(VALU_DEP_2)
	v_readfirstlane_b32 s2, v4
	v_readfirstlane_b32 s7, v1
	s_delay_alu instid0(VALU_DEP_2) | instskip(NEXT) | instid1(VALU_DEP_1)
	s_mul_i32 s14, s12, s2
	s_mul_hi_u32 s17, s12, s7
	s_mul_i32 s16, s13, s7
	s_add_i32 s14, s17, s14
	s_mul_i32 s18, s12, s7
	s_add_i32 s14, s14, s16
	s_mul_hi_u32 s17, s7, s18
	s_mul_hi_u32 s19, s2, s18
	s_mul_i32 s16, s2, s18
	s_mul_hi_u32 s18, s7, s14
	s_mul_i32 s7, s7, s14
	s_mul_hi_u32 s20, s2, s14
	s_add_u32 s7, s17, s7
	s_addc_u32 s17, 0, s18
	s_add_u32 s7, s7, s16
	s_mul_i32 s14, s2, s14
	s_addc_u32 s7, s17, s19
	s_addc_u32 s16, s20, 0
	s_add_u32 s7, s7, s14
	s_addc_u32 s14, 0, s16
	v_add_co_u32 v1, s7, v1, s7
	s_delay_alu instid0(VALU_DEP_1) | instskip(SKIP_1) | instid1(VALU_DEP_1)
	s_cmp_lg_u32 s7, 0
	s_addc_u32 s2, s2, s14
	v_readfirstlane_b32 s7, v1
	s_mul_i32 s14, s12, s2
	s_delay_alu instid0(VALU_DEP_1)
	s_mul_hi_u32 s16, s12, s7
	s_mul_i32 s13, s13, s7
	s_add_i32 s14, s16, s14
	s_mul_i32 s12, s12, s7
	s_add_i32 s14, s14, s13
	s_mul_hi_u32 s16, s2, s12
	s_mul_i32 s17, s2, s12
	s_mul_hi_u32 s12, s7, s12
	s_mul_hi_u32 s18, s7, s14
	s_mul_i32 s7, s7, s14
	s_mul_hi_u32 s13, s2, s14
	s_add_u32 s7, s12, s7
	s_addc_u32 s12, 0, s18
	s_add_u32 s7, s7, s17
	s_mul_i32 s14, s2, s14
	s_addc_u32 s7, s12, s16
	s_addc_u32 s12, s13, 0
	s_add_u32 s7, s7, s14
	s_addc_u32 s12, 0, s12
	v_add_co_u32 v1, s7, v1, s7
	s_delay_alu instid0(VALU_DEP_1) | instskip(SKIP_2) | instid1(VALU_DEP_1)
	s_cmp_lg_u32 s7, 0
	s_addc_u32 s7, s2, s12
	s_ashr_i32 s12, s3, 31
	v_readfirstlane_b32 s14, v1
	s_add_u32 s2, s6, s12
	s_mov_b32 s13, s12
	s_addc_u32 s3, s3, s12
	s_delay_alu instid0(SALU_CYCLE_1) | instskip(NEXT) | instid1(SALU_CYCLE_1)
	s_xor_b64 s[2:3], s[2:3], s[12:13]
	s_mul_i32 s17, s2, s7
	s_mul_hi_u32 s18, s2, s14
	s_mul_hi_u32 s16, s2, s7
	;; [unrolled: 1-line block ×3, first 2 shown]
	s_mul_i32 s14, s3, s14
	s_add_u32 s17, s18, s17
	s_addc_u32 s16, 0, s16
	s_mul_hi_u32 s19, s3, s7
	s_add_u32 s14, s17, s14
	s_mul_i32 s7, s3, s7
	s_addc_u32 s14, s16, s20
	s_addc_u32 s16, s19, 0
	s_add_u32 s7, s14, s7
	s_addc_u32 s14, 0, s16
	s_mul_i32 s17, s9, s7
	s_add_u32 s16, s7, 1
	v_sub_co_u32 v1, s2, s2, s17
	s_mul_hi_u32 s17, s9, s7
	s_addc_u32 s18, s14, 0
	s_mul_i32 s19, s9, s14
	s_delay_alu instid0(VALU_DEP_1)
	v_sub_co_u32 v4, s20, v1, s9
	s_add_u32 s21, s7, 2
	s_addc_u32 s22, s14, 0
	s_add_i32 s17, s17, s19
	s_cmp_lg_u32 s2, 0
	v_readfirstlane_b32 s2, v4
	s_subb_u32 s3, s3, s17
	s_cmp_lg_u32 s20, 0
	s_subb_u32 s17, s3, 0
	s_delay_alu instid0(VALU_DEP_1) | instskip(SKIP_4) | instid1(SALU_CYCLE_1)
	s_cmp_ge_u32 s2, s9
	s_cselect_b32 s2, -1, 0
	s_cmp_eq_u32 s17, 0
	v_readfirstlane_b32 s17, v1
	s_cselect_b32 s2, s2, -1
	s_cmp_lg_u32 s2, 0
	s_cselect_b32 s2, s21, s16
	s_cselect_b32 s16, s22, s18
	s_cmp_ge_u32 s17, s9
	s_cselect_b32 s17, -1, 0
	s_cmp_eq_u32 s3, 0
	s_cselect_b32 s3, s17, -1
	s_delay_alu instid0(SALU_CYCLE_1) | instskip(SKIP_2) | instid1(SALU_CYCLE_1)
	s_cmp_lg_u32 s3, 0
	s_cselect_b32 s3, s16, s14
	s_cselect_b32 s2, s2, s7
	s_xor_b64 s[2:3], s[2:3], s[12:13]
	s_delay_alu instid0(SALU_CYCLE_1)
	s_sub_u32 s2, s2, s12
	s_subb_u32 s3, s3, s12
	s_cbranch_execnz .LBB12_5
.LBB12_4:
	v_cvt_f32_u32_e32 v1, s9
	s_sub_i32 s3, 0, s9
	s_delay_alu instid0(VALU_DEP_1) | instskip(SKIP_2) | instid1(VALU_DEP_1)
	v_rcp_iflag_f32_e32 v1, v1
	s_waitcnt_depctr 0xfff
	v_mul_f32_e32 v1, 0x4f7ffffe, v1
	v_cvt_u32_f32_e32 v1, v1
	s_delay_alu instid0(VALU_DEP_1) | instskip(NEXT) | instid1(VALU_DEP_1)
	v_readfirstlane_b32 s2, v1
	s_mul_i32 s3, s3, s2
	s_delay_alu instid0(SALU_CYCLE_1) | instskip(NEXT) | instid1(SALU_CYCLE_1)
	s_mul_hi_u32 s3, s2, s3
	s_add_i32 s2, s2, s3
	s_delay_alu instid0(SALU_CYCLE_1) | instskip(NEXT) | instid1(SALU_CYCLE_1)
	s_mul_hi_u32 s2, s6, s2
	s_mul_i32 s3, s2, s9
	s_delay_alu instid0(SALU_CYCLE_1)
	s_sub_i32 s3, s6, s3
	s_add_i32 s6, s2, 1
	s_sub_i32 s7, s3, s9
	s_cmp_ge_u32 s3, s9
	s_cselect_b32 s2, s6, s2
	s_cselect_b32 s3, s7, s3
	s_add_i32 s6, s2, 1
	s_cmp_ge_u32 s3, s9
	s_mov_b32 s3, 0
	s_cselect_b32 s2, s6, s2
.LBB12_5:
	v_mov_b32_e32 v1, 0
	s_add_u32 s2, s2, 1
	s_addc_u32 s3, s3, 0
	s_mul_hi_u32 s6, s8, s2
	s_mul_i32 s3, s8, s3
	v_mad_u64_u32 v[10:11], null, s10, s15, v[0:1]
	s_mul_hi_u32 s7, s11, s10
	s_add_i32 s3, s6, s3
	s_mul_i32 s7, s7, s2
	s_mul_i32 s2, s8, s2
	s_add_i32 s3, s3, s7
	s_mov_b32 s6, exec_lo
	s_lshl_b64 s[2:3], s[2:3], 2
	s_delay_alu instid0(SALU_CYCLE_1)
	v_cmpx_gt_i64_e64 s[2:3], v[10:11]
	s_cbranch_execz .LBB12_26
; %bb.6:
	s_load_b64 s[6:7], s[0:1], 0x40
	v_alignbit_b32 v23, v3, v2, 2
	v_lshrrev_b32_e32 v24, 2, v3
	s_waitcnt vmcnt(0)
	v_add_co_u32 v22, null, 0x9e3779b9, v8
	v_add_co_u32 v25, null, 0x3c6ef372, v8
	;; [unrolled: 1-line block ×5, first 2 shown]
	s_add_i32 s16, s15, s11
	s_lshl_b32 s14, s11, 1
	v_add_co_u32 v28, null, 0xf1bbcdc8, v8
	v_dual_mov_b32 v35, v10 :: v_dual_mov_b32 v38, v9
	s_waitcnt lgkmcnt(0)
	v_cvt_f32_f64_e32 v14, s[6:7]
	s_mov_b32 s6, 0x3e9b6dac
	s_delay_alu instid0(VALU_DEP_2)
	v_add_co_u32 v29, null, 0xbb67ae85, v38
	v_add_co_u32 v34, null, 0xa9066899, v38
	;; [unrolled: 1-line block ×4, first 2 shown]
	v_sub_f32_e32 v1, 1.0, v14
	v_cmp_gt_f32_e64 s13, 0x33800000, |v14|
	s_delay_alu instid0(VALU_DEP_2) | instskip(NEXT) | instid1(VALU_DEP_1)
	v_cvt_f64_f32_e32 v[4:5], v1
	v_frexp_exp_i32_f64_e32 v4, v[4:5]
	v_frexp_mant_f32_e32 v5, v1
	s_delay_alu instid0(VALU_DEP_1) | instskip(SKIP_1) | instid1(VALU_DEP_1)
	v_cmp_gt_f32_e32 vcc_lo, 0x3f2aaaab, v5
	v_add_f32_e32 v5, -1.0, v1
	v_sub_f32_e32 v7, v5, v1
	v_sub_f32_e64 v5, -v14, v5
	v_subrev_co_ci_u32_e32 v4, vcc_lo, 0, v4, vcc_lo
	v_cmp_eq_f32_e32 vcc_lo, 0xff800000, v14
	s_delay_alu instid0(VALU_DEP_2) | instskip(SKIP_1) | instid1(VALU_DEP_2)
	v_sub_nc_u32_e32 v6, 0, v4
	v_cvt_f32_i32_e32 v4, v4
	v_ldexp_f32 v1, v1, v6
	s_delay_alu instid0(VALU_DEP_1) | instskip(NEXT) | instid1(VALU_DEP_1)
	v_dual_add_f32 v7, 1.0, v7 :: v_dual_add_f32 v12, 1.0, v1
	v_add_f32_e32 v5, v5, v7
	s_delay_alu instid0(VALU_DEP_2) | instskip(NEXT) | instid1(VALU_DEP_2)
	v_add_f32_e32 v7, -1.0, v12
	v_ldexp_f32 v5, v5, v6
	s_delay_alu instid0(VALU_DEP_2) | instskip(NEXT) | instid1(VALU_DEP_1)
	v_dual_add_f32 v6, -1.0, v1 :: v_dual_sub_f32 v7, v1, v7
	v_add_f32_e32 v13, 1.0, v6
	s_delay_alu instid0(VALU_DEP_2) | instskip(NEXT) | instid1(VALU_DEP_2)
	v_add_f32_e32 v7, v5, v7
	v_sub_f32_e32 v1, v1, v13
	s_delay_alu instid0(VALU_DEP_2) | instskip(NEXT) | instid1(VALU_DEP_2)
	v_add_f32_e32 v13, v12, v7
	v_add_f32_e32 v1, v5, v1
	s_delay_alu instid0(VALU_DEP_2) | instskip(NEXT) | instid1(VALU_DEP_1)
	v_rcp_f32_e32 v5, v13
	v_dual_sub_f32 v12, v13, v12 :: v_dual_add_f32 v15, v6, v1
	s_delay_alu instid0(VALU_DEP_1) | instskip(NEXT) | instid1(VALU_DEP_2)
	v_sub_f32_e32 v7, v7, v12
	v_sub_f32_e32 v6, v15, v6
	s_waitcnt_depctr 0xfff
	v_dual_mul_f32 v16, v15, v5 :: v_dual_sub_f32 v1, v1, v6
	s_delay_alu instid0(VALU_DEP_1) | instskip(NEXT) | instid1(VALU_DEP_1)
	v_mul_f32_e32 v17, v13, v16
	v_fma_f32 v12, v16, v13, -v17
	s_delay_alu instid0(VALU_DEP_1) | instskip(NEXT) | instid1(VALU_DEP_1)
	v_fmac_f32_e32 v12, v16, v7
	v_add_f32_e32 v18, v17, v12
	s_delay_alu instid0(VALU_DEP_1) | instskip(NEXT) | instid1(VALU_DEP_1)
	v_dual_sub_f32 v19, v15, v18 :: v_dual_sub_f32 v6, v18, v17
	v_dual_sub_f32 v15, v15, v19 :: v_dual_sub_f32 v6, v6, v12
	s_delay_alu instid0(VALU_DEP_1) | instskip(NEXT) | instid1(VALU_DEP_1)
	v_sub_f32_e32 v15, v15, v18
	v_add_f32_e32 v1, v1, v15
	s_delay_alu instid0(VALU_DEP_1) | instskip(NEXT) | instid1(VALU_DEP_1)
	v_add_f32_e32 v1, v6, v1
	v_add_f32_e32 v6, v19, v1
	s_delay_alu instid0(VALU_DEP_1) | instskip(SKIP_2) | instid1(VALU_DEP_3)
	v_mul_f32_e32 v12, v5, v6
	v_sub_f32_e32 v18, v19, v6
	v_add_co_u32 v19, null, 0x5384540f, v8
	v_mul_f32_e32 v15, v13, v12
	s_delay_alu instid0(VALU_DEP_3) | instskip(NEXT) | instid1(VALU_DEP_2)
	v_dual_add_f32 v1, v1, v18 :: v_dual_add_nc_u32 v18, 0x96a522ad, v9
	v_fma_f32 v13, v12, v13, -v15
	s_delay_alu instid0(VALU_DEP_1) | instskip(NEXT) | instid1(VALU_DEP_1)
	v_fmac_f32_e32 v13, v12, v7
	v_add_f32_e32 v7, v15, v13
	s_delay_alu instid0(VALU_DEP_1) | instskip(NEXT) | instid1(VALU_DEP_1)
	v_sub_f32_e32 v17, v6, v7
	v_dual_sub_f32 v15, v7, v15 :: v_dual_sub_f32 v6, v6, v17
	s_delay_alu instid0(VALU_DEP_1) | instskip(NEXT) | instid1(VALU_DEP_1)
	v_dual_sub_f32 v6, v6, v7 :: v_dual_sub_f32 v7, v15, v13
	v_dual_add_f32 v1, v1, v6 :: v_dual_add_f32 v6, v16, v12
	s_delay_alu instid0(VALU_DEP_1) | instskip(NEXT) | instid1(VALU_DEP_2)
	v_add_f32_e32 v1, v7, v1
	v_dual_sub_f32 v7, v6, v16 :: v_dual_and_b32 v16, 3, v2
	s_delay_alu instid0(VALU_DEP_2) | instskip(NEXT) | instid1(VALU_DEP_2)
	v_add_f32_e32 v1, v17, v1
	v_sub_f32_e32 v7, v12, v7
	v_add_nc_u32_e32 v17, 0x8ff34781, v8
	s_delay_alu instid0(VALU_DEP_3) | instskip(NEXT) | instid1(VALU_DEP_1)
	v_mul_f32_e32 v1, v5, v1
	v_add_f32_e32 v1, v7, v1
	s_delay_alu instid0(VALU_DEP_1) | instskip(NEXT) | instid1(VALU_DEP_1)
	v_add_f32_e32 v5, v6, v1
	v_mul_f32_e32 v7, v5, v5
	s_delay_alu instid0(VALU_DEP_1)
	v_fmaak_f32 v12, s6, v7, 0x3ecc95a3
	v_mul_f32_e32 v13, v5, v7
	s_clause 0x1
	s_load_b64 s[6:7], s[0:1], 0x30
	s_load_b32 s12, s[0:1], 0x38
	s_mov_b32 s0, 0
	s_lshl_b32 s1, s8, 1
	v_fmaak_f32 v7, v7, v12, 0x3f2aaada
	v_ldexp_f32 v12, v5, 1
	v_sub_f32_e32 v5, v5, v6
	v_log_f32_e32 v32, s0
	s_delay_alu instid0(VALU_DEP_3) | instskip(SKIP_1) | instid1(VALU_DEP_2)
	v_mul_f32_e32 v7, v13, v7
	v_mul_f32_e32 v13, 0x3f317218, v4
	v_dual_sub_f32 v1, v1, v5 :: v_dual_add_f32 v6, v12, v7
	s_delay_alu instid0(VALU_DEP_1) | instskip(NEXT) | instid1(VALU_DEP_2)
	v_ldexp_f32 v1, v1, 1
	v_sub_f32_e32 v5, v6, v12
	s_delay_alu instid0(VALU_DEP_4) | instskip(NEXT) | instid1(VALU_DEP_1)
	v_fma_f32 v12, 0x3f317218, v4, -v13
	v_dual_sub_f32 v5, v7, v5 :: v_dual_fmamk_f32 v4, v4, 0xb102e308, v12
	s_delay_alu instid0(VALU_DEP_1) | instskip(NEXT) | instid1(VALU_DEP_2)
	v_add_f32_e32 v5, v1, v5
	v_add_f32_e32 v7, v13, v4
	v_mad_u64_u32 v[1:2], null, 0xcd9e8d57, v10, 0
	s_delay_alu instid0(VALU_DEP_3) | instskip(NEXT) | instid1(VALU_DEP_3)
	v_add_f32_e32 v12, v6, v5
	v_sub_f32_e32 v13, v7, v13
	s_delay_alu instid0(VALU_DEP_3) | instskip(NEXT) | instid1(VALU_DEP_3)
	v_xor3_b32 v2, v8, v2, v24
	v_dual_add_f32 v15, v7, v12 :: v_dual_sub_f32 v6, v12, v6
	s_delay_alu instid0(VALU_DEP_3) | instskip(NEXT) | instid1(VALU_DEP_2)
	v_sub_f32_e32 v13, v4, v13
	v_dual_sub_f32 v3, v15, v7 :: v_dual_sub_f32 v6, v5, v6
	s_delay_alu instid0(VALU_DEP_1) | instskip(SKIP_2) | instid1(VALU_DEP_3)
	v_sub_f32_e32 v27, v15, v3
	v_sub_f32_e32 v5, v12, v3
	v_mad_u64_u32 v[3:4], null, 0xd2511f53, v23, 0
	v_dual_add_f32 v12, v13, v6 :: v_dual_sub_f32 v7, v7, v27
	v_add_co_u32 v27, null, 0xb54cda56, v8
	s_delay_alu instid0(VALU_DEP_3) | instskip(NEXT) | instid1(VALU_DEP_3)
	v_xor_b32_e32 v31, v4, v9
	v_add_f32_e32 v5, v5, v7
	s_delay_alu instid0(VALU_DEP_4) | instskip(NEXT) | instid1(VALU_DEP_2)
	v_sub_f32_e32 v7, v12, v13
	v_add_f32_e32 v30, v12, v5
	s_delay_alu instid0(VALU_DEP_2) | instskip(SKIP_2) | instid1(VALU_DEP_4)
	v_sub_f32_e32 v12, v12, v7
	v_mad_u64_u32 v[4:5], null, 0xd2511f53, v2, 0
	v_xor_b32_e32 v2, v31, v11
	v_add_f32_e32 v33, v15, v30
	s_delay_alu instid0(VALU_DEP_4) | instskip(NEXT) | instid1(VALU_DEP_3)
	v_dual_sub_f32 v31, v6, v7 :: v_dual_sub_f32 v12, v13, v12
	v_mad_u64_u32 v[6:7], null, 0xcd9e8d57, v2, 0
	s_delay_alu instid0(VALU_DEP_3) | instskip(SKIP_1) | instid1(VALU_DEP_4)
	v_sub_f32_e32 v13, v33, v15
	v_xor3_b32 v5, v29, v5, v3
	v_add_f32_e32 v12, v31, v12
	v_mul_f32_e32 v15, 0x3f317217, v32
	v_add_co_u32 v31, null, 0x32370b8f, v38
	v_sub_f32_e32 v13, v30, v13
	v_mad_u64_u32 v[2:3], null, 0xcd9e8d57, v5, 0
	v_xor3_b32 v1, v22, v7, v1
	v_add_co_u32 v30, null, 0x76cf5d0a, v38
	s_delay_alu instid0(VALU_DEP_4) | instskip(SKIP_1) | instid1(VALU_DEP_4)
	v_add_f32_e32 v5, v12, v13
	v_fma_f32 v7, 0x3f317217, v32, -v15
	v_mad_u64_u32 v[12:13], null, 0xd2511f53, v1, 0
	v_xor3_b32 v3, v25, v3, v6
	s_delay_alu instid0(VALU_DEP_4) | instskip(NEXT) | instid1(VALU_DEP_4)
	v_add_f32_e32 v1, v33, v5
	v_fmac_f32_e32 v7, 0x3377d1cf, v32
	v_add_co_u32 v33, null, 0xed9eba14, v38
	s_delay_alu instid0(VALU_DEP_4) | instskip(NEXT) | instid1(VALU_DEP_4)
	v_mad_u64_u32 v[5:6], null, 0xd2511f53, v3, 0
	v_cndmask_b32_e64 v1, v1, -v14, vcc_lo
	v_cmp_nlt_f32_e32 vcc_lo, 1.0, v14
	v_xor3_b32 v13, v30, v13, v4
	v_add_f32_e32 v7, v15, v7
	v_add_co_u32 v38, null, 0xdb3d7428, v38
	v_cndmask_b32_e32 v1, 0x7fc00000, v1, vcc_lo
	v_cmp_neq_f32_e32 vcc_lo, 1.0, v14
	v_mad_u64_u32 v[3:4], null, 0xcd9e8d57, v13, 0
	v_xor3_b32 v6, v31, v6, v12
	s_delay_alu instid0(VALU_DEP_4) | instskip(SKIP_1) | instid1(VALU_DEP_4)
	v_cndmask_b32_e32 v1, 0xff800000, v1, vcc_lo
	v_cmp_gt_f32_e64 vcc_lo, 0x7f800000, |v32|
	v_xor3_b32 v4, v21, v4, v2
	v_cndmask_b32_e32 v39, v32, v7, vcc_lo
	s_delay_alu instid0(VALU_DEP_4) | instskip(SKIP_1) | instid1(VALU_DEP_4)
	v_cndmask_b32_e64 v32, v1, -v14, s13
	v_mad_u64_u32 v[1:2], null, 0xcd9e8d57, v6, 0
	v_mad_u64_u32 v[6:7], null, 0xd2511f53, v4, 0
	s_delay_alu instid0(VALU_DEP_3) | instskip(SKIP_1) | instid1(VALU_DEP_4)
	v_div_scale_f32 v15, null, v32, v32, v39
	v_div_scale_f32 v41, vcc_lo, v39, v32, v39
	v_xor3_b32 v4, v26, v2, v3
	s_delay_alu instid0(VALU_DEP_3) | instskip(NEXT) | instid1(VALU_DEP_4)
	v_rcp_f32_e32 v40, v15
	v_xor3_b32 v7, v33, v7, v5
	v_mad_u64_u32 v[12:13], null, s15, s10, v[0:1]
	s_delay_alu instid0(VALU_DEP_3) | instskip(NEXT) | instid1(VALU_DEP_3)
	v_mad_u64_u32 v[2:3], null, 0xd2511f53, v4, 0
	v_mad_u64_u32 v[4:5], null, 0xcd9e8d57, v7, 0
	s_mul_i32 s13, s11, 3
	s_waitcnt lgkmcnt(0)
	s_mul_i32 s11, s11, s12
	s_waitcnt_depctr 0xfff
	v_fma_f32 v7, -v15, v40, 1.0
	s_add_i32 s13, s15, s13
	v_xor3_b32 v3, v34, v3, v6
	s_add_i32 s15, s15, s14
	v_xor3_b32 v1, v20, v5, v1
	v_fmac_f32_e32 v40, v7, v40
	s_mul_i32 s11, s11, s10
	v_mad_u64_u32 v[5:6], null, 0xcd9e8d57, v3, 0
	s_delay_alu instid0(VALU_DEP_3) | instskip(NEXT) | instid1(VALU_DEP_3)
	v_mad_u64_u32 v[13:14], null, 0xd2511f53, v1, 0
	v_mul_f32_e32 v7, v41, v40
	s_lshl_b32 s11, s11, 2
	s_delay_alu instid0(VALU_DEP_3) | instskip(NEXT) | instid1(VALU_DEP_2)
	v_xor3_b32 v3, v27, v6, v4
	v_fma_f32 v1, -v15, v7, v41
	s_delay_alu instid0(VALU_DEP_4) | instskip(NEXT) | instid1(VALU_DEP_2)
	v_xor3_b32 v6, v36, v14, v2
	v_fmac_f32_e32 v7, v1, v40
	s_delay_alu instid0(VALU_DEP_4) | instskip(NEXT) | instid1(VALU_DEP_3)
	v_mad_u64_u32 v[1:2], null, 0xd2511f53, v3, 0
	v_mad_u64_u32 v[3:4], null, 0xcd9e8d57, v6, 0
	s_delay_alu instid0(VALU_DEP_3) | instskip(NEXT) | instid1(VALU_DEP_3)
	v_fma_f32 v14, -v15, v7, v41
	v_xor3_b32 v2, v37, v2, v13
	s_delay_alu instid0(VALU_DEP_2) | instskip(SKIP_2) | instid1(VALU_DEP_3)
	v_div_fmas_f32 v40, v14, v40, v7
	v_mad_u64_u32 v[6:7], null, s16, s10, v[0:1]
	v_mad_u64_u32 v[14:15], null, s13, s10, v[0:1]
	v_div_fixup_f32 v7, v40, v32, v39
	v_mad_u64_u32 v[41:42], null, s15, s10, v[0:1]
	v_xor3_b32 v0, v19, v4, v5
	v_mad_u64_u32 v[43:44], null, 0xcd9e8d57, v2, 0
	s_delay_alu instid0(VALU_DEP_4) | instskip(SKIP_1) | instid1(VALU_DEP_4)
	v_ceil_f32_e32 v7, v7
	v_mul_lo_u32 v39, s12, v12
	v_mad_u64_u32 v[45:46], null, 0xd2511f53, v0, 0
	v_mul_lo_u32 v42, s12, v6
	s_delay_alu instid0(VALU_DEP_4)
	v_mul_f32_e64 v0, 0x2f800000, |v7|
	v_xor3_b32 v3, v28, v44, v3
	v_mul_lo_u32 v40, s12, v14
	v_mul_lo_u32 v41, s12, v41
	s_mul_i32 s10, s8, 3
	v_floor_f32_e32 v2, v0
	v_xor3_b32 v12, v38, v46, v1
	v_mad_u64_u32 v[0:1], null, 0xd2511f53, v3, 0
	s_mov_b32 s12, 0
	s_delay_alu instid0(VALU_DEP_3) | instskip(SKIP_3) | instid1(VALU_DEP_4)
	v_fma_f32 v13, 0xcf800000, v2, |v7|
	v_ashrrev_i32_e32 v7, 31, v7
	v_cvt_u32_f32_e32 v2, v2
	v_mad_u64_u32 v[4:5], null, 0xcd9e8d57, v12, 0
	v_cvt_u32_f32_e32 v3, v13
	v_mov_b32_e32 v6, v0
	s_delay_alu instid0(VALU_DEP_4) | instskip(NEXT) | instid1(VALU_DEP_3)
	v_xor_b32_e32 v2, v2, v7
	v_xor_b32_e32 v0, v3, v7
	v_xor3_b32 v3, v5, v43, v17
	v_xor3_b32 v5, v1, v45, v18
	v_mov_b32_e32 v43, v11
	s_delay_alu instid0(VALU_DEP_4)
	v_sub_co_u32 v12, vcc_lo, v0, v7
	v_sub_co_ci_u32_e32 v13, vcc_lo, v2, v7, vcc_lo
	s_branch .LBB12_8
.LBB12_7:                               ;   in Loop: Header=BB12_8 Depth=1
	s_or_b32 exec_lo, exec_lo, s13
	v_add_co_u32 v10, vcc_lo, v10, s9
	v_add_co_ci_u32_e32 v11, vcc_lo, 0, v11, vcc_lo
	v_mov_b32_e32 v3, v14
	s_add_i32 s12, s12, s11
	s_waitcnt_vscnt null, 0x0
	s_delay_alu instid0(VALU_DEP_2)
	v_cmp_le_i64_e32 vcc_lo, s[2:3], v[10:11]
	s_barrier
	v_mov_b32_e32 v6, v3
	v_dual_mov_b32 v5, v2 :: v_dual_mov_b32 v4, v1
	v_mov_b32_e32 v3, v0
	s_or_b32 s0, vcc_lo, s0
	buffer_gl0_inv
	s_and_not1_b32 exec_lo, exec_lo, s0
	s_cbranch_execz .LBB12_26
.LBB12_8:                               ; =>This Inner Loop Header: Depth=1
	v_add_co_u32 v23, vcc_lo, v23, 1
	s_delay_alu instid0(VALU_DEP_1) | instskip(SKIP_2) | instid1(VALU_DEP_1)
	v_cndmask_b32_e64 v0, 0, 1, vcc_lo
	v_add_co_ci_u32_e32 v24, vcc_lo, 0, v24, vcc_lo
	s_mov_b32 s13, exec_lo
	v_cmp_eq_u32_e32 vcc_lo, 0, v24
	s_delay_alu instid0(VALU_DEP_3) | instskip(NEXT) | instid1(VALU_DEP_1)
	v_cndmask_b32_e32 v0, 0, v0, vcc_lo
	v_add_nc_u32_e32 v35, v0, v35
	s_delay_alu instid0(VALU_DEP_1) | instskip(SKIP_2) | instid1(VALU_DEP_2)
	v_cmp_eq_u32_e32 vcc_lo, 0, v35
	v_cndmask_b32_e32 v0, 0, v0, vcc_lo
	v_mad_u64_u32 v[14:15], null, 0xcd9e8d57, v35, 0
	v_add_nc_u32_e32 v43, v0, v43
	v_mad_u64_u32 v[0:1], null, 0xd2511f53, v23, 0
	s_delay_alu instid0(VALU_DEP_3) | instskip(NEXT) | instid1(VALU_DEP_2)
	v_xor3_b32 v7, v15, v8, v24
	v_xor_b32_e32 v1, v1, v9
	s_delay_alu instid0(VALU_DEP_1) | instskip(NEXT) | instid1(VALU_DEP_3)
	v_xor_b32_e32 v15, v43, v1
	v_mad_u64_u32 v[1:2], null, 0xd2511f53, v7, 0
	s_delay_alu instid0(VALU_DEP_2) | instskip(NEXT) | instid1(VALU_DEP_2)
	v_mad_u64_u32 v[44:45], null, 0xcd9e8d57, v15, 0
	v_xor3_b32 v0, v29, v2, v0
	s_delay_alu instid0(VALU_DEP_2) | instskip(NEXT) | instid1(VALU_DEP_2)
	v_xor3_b32 v2, v22, v45, v14
	v_mad_u64_u32 v[14:15], null, 0xcd9e8d57, v0, 0
	s_delay_alu instid0(VALU_DEP_2) | instskip(NEXT) | instid1(VALU_DEP_2)
	v_mad_u64_u32 v[45:46], null, 0xd2511f53, v2, 0
	v_xor3_b32 v2, v25, v15, v44
	s_delay_alu instid0(VALU_DEP_2) | instskip(NEXT) | instid1(VALU_DEP_2)
	v_xor3_b32 v7, v30, v46, v1
	;; [unrolled: 6-line block ×9, first 2 shown]
	v_mov_b32_e32 v2, v7
	v_cmpx_lt_i32_e32 1, v16
	s_xor_b32 s13, exec_lo, s13
	s_cbranch_execnz .LBB12_18
; %bb.9:                                ;   in Loop: Header=BB12_8 Depth=1
	s_and_not1_saveexec_b32 s13, s13
	s_cbranch_execnz .LBB12_23
.LBB12_10:                              ;   in Loop: Header=BB12_8 Depth=1
	s_or_b32 exec_lo, exec_lo, s13
	s_delay_alu instid0(SALU_CYCLE_1)
	s_mov_b32 s13, exec_lo
	v_cmpx_gt_i64_e64 s[4:5], v[10:11]
	s_cbranch_execz .LBB12_12
.LBB12_11:                              ;   in Loop: Header=BB12_8 Depth=1
	v_lshrrev_b32_e32 v4, 11, v4
	s_delay_alu instid0(VALU_DEP_1) | instskip(SKIP_1) | instid1(VALU_DEP_2)
	v_cvt_f64_u32_e32 v[44:45], v4
	v_cvt_f64_u32_e32 v[3:4], v3
	v_ldexp_f64 v[44:45], v[44:45], 32
	s_delay_alu instid0(VALU_DEP_1) | instskip(NEXT) | instid1(VALU_DEP_1)
	v_add_f64 v[3:4], v[44:45], v[3:4]
	v_fma_f64 v[3:4], 0x3ca00000, v[3:4], 0x3ca00000
	s_delay_alu instid0(VALU_DEP_1) | instskip(NEXT) | instid1(VALU_DEP_1)
	v_cvt_f32_f64_e32 v3, v[3:4]
	v_cmp_gt_f32_e32 vcc_lo, 0x800000, v3
	v_cndmask_b32_e64 v4, 1.0, 0x4f800000, vcc_lo
	s_delay_alu instid0(VALU_DEP_1) | instskip(NEXT) | instid1(VALU_DEP_1)
	v_mul_f32_e32 v3, v3, v4
	v_log_f32_e32 v3, v3
	s_waitcnt_depctr 0xfff
	v_mul_f32_e32 v4, 0x3f317217, v3
	s_delay_alu instid0(VALU_DEP_1) | instskip(NEXT) | instid1(VALU_DEP_1)
	v_fma_f32 v7, 0x3f317217, v3, -v4
	v_fmac_f32_e32 v7, 0x3377d1cf, v3
	s_delay_alu instid0(VALU_DEP_1) | instskip(SKIP_2) | instid1(VALU_DEP_3)
	v_add_f32_e32 v4, v4, v7
	v_cndmask_b32_e64 v7, 0, 0x41b17218, vcc_lo
	v_cmp_gt_f32_e64 vcc_lo, 0x7f800000, |v3|
	v_cndmask_b32_e32 v3, v3, v4, vcc_lo
	s_delay_alu instid0(VALU_DEP_1) | instskip(NEXT) | instid1(VALU_DEP_1)
	v_sub_f32_e32 v3, v3, v7
	v_div_scale_f32 v4, null, v32, v32, v3
	v_div_scale_f32 v44, vcc_lo, v3, v32, v3
	s_delay_alu instid0(VALU_DEP_2) | instskip(SKIP_2) | instid1(VALU_DEP_1)
	v_rcp_f32_e32 v7, v4
	s_waitcnt_depctr 0xfff
	v_fma_f32 v15, -v4, v7, 1.0
	v_fmac_f32_e32 v7, v15, v7
	s_delay_alu instid0(VALU_DEP_1) | instskip(NEXT) | instid1(VALU_DEP_1)
	v_mul_f32_e32 v15, v44, v7
	v_fma_f32 v45, -v4, v15, v44
	s_delay_alu instid0(VALU_DEP_1) | instskip(NEXT) | instid1(VALU_DEP_1)
	v_fmac_f32_e32 v15, v45, v7
	v_fma_f32 v4, -v4, v15, v44
	s_delay_alu instid0(VALU_DEP_1) | instskip(SKIP_1) | instid1(VALU_DEP_2)
	v_div_fmas_f32 v4, v4, v7, v15
	v_add_nc_u32_e32 v15, s12, v39
	v_div_fixup_f32 v3, v4, v32, v3
	s_delay_alu instid0(VALU_DEP_1) | instskip(NEXT) | instid1(VALU_DEP_1)
	v_ceil_f32_e32 v3, v3
	v_mul_f32_e64 v4, 0x2f800000, |v3|
	v_ashrrev_i32_e32 v45, 31, v3
	s_delay_alu instid0(VALU_DEP_2) | instskip(NEXT) | instid1(VALU_DEP_1)
	v_floor_f32_e32 v4, v4
	v_fma_f32 v7, 0xcf800000, v4, |v3|
	v_cvt_u32_f32_e32 v3, v4
	s_delay_alu instid0(VALU_DEP_2) | instskip(SKIP_1) | instid1(VALU_DEP_3)
	v_cvt_u32_f32_e32 v4, v7
	v_ashrrev_i32_e32 v7, 31, v15
	v_xor_b32_e32 v46, v3, v45
	v_add_co_u32 v3, vcc_lo, s6, v15
	s_delay_alu instid0(VALU_DEP_4) | instskip(NEXT) | instid1(VALU_DEP_4)
	v_xor_b32_e32 v44, v4, v45
	v_add_co_ci_u32_e32 v4, vcc_lo, s7, v7, vcc_lo
	s_delay_alu instid0(VALU_DEP_2)
	v_sub_co_u32 v44, vcc_lo, v44, v45
	v_sub_co_ci_u32_e32 v45, vcc_lo, v46, v45, vcc_lo
	global_store_b64 v[3:4], v[44:45], off
.LBB12_12:                              ;   in Loop: Header=BB12_8 Depth=1
	s_or_b32 exec_lo, exec_lo, s13
	v_add_co_u32 v3, vcc_lo, s8, v10
	v_add_co_ci_u32_e32 v4, vcc_lo, 0, v11, vcc_lo
	s_mov_b32 s13, exec_lo
	s_delay_alu instid0(VALU_DEP_1)
	v_cmpx_gt_i64_e64 s[4:5], v[3:4]
	s_cbranch_execz .LBB12_14
; %bb.13:                               ;   in Loop: Header=BB12_8 Depth=1
	v_lshrrev_b32_e32 v3, 11, v6
	v_cvt_f64_u32_e32 v[5:6], v5
	s_delay_alu instid0(VALU_DEP_2) | instskip(NEXT) | instid1(VALU_DEP_1)
	v_cvt_f64_u32_e32 v[3:4], v3
	v_ldexp_f64 v[3:4], v[3:4], 32
	s_delay_alu instid0(VALU_DEP_1) | instskip(NEXT) | instid1(VALU_DEP_1)
	v_add_f64 v[3:4], v[3:4], v[5:6]
	v_fma_f64 v[3:4], 0x3ca00000, v[3:4], 0x3ca00000
	s_delay_alu instid0(VALU_DEP_1) | instskip(NEXT) | instid1(VALU_DEP_1)
	v_cvt_f32_f64_e32 v3, v[3:4]
	v_cmp_gt_f32_e32 vcc_lo, 0x800000, v3
	v_cndmask_b32_e64 v4, 1.0, 0x4f800000, vcc_lo
	s_delay_alu instid0(VALU_DEP_1) | instskip(NEXT) | instid1(VALU_DEP_1)
	v_mul_f32_e32 v3, v3, v4
	v_log_f32_e32 v3, v3
	s_waitcnt_depctr 0xfff
	v_mul_f32_e32 v4, 0x3f317217, v3
	s_delay_alu instid0(VALU_DEP_1) | instskip(NEXT) | instid1(VALU_DEP_1)
	v_fma_f32 v5, 0x3f317217, v3, -v4
	v_fmac_f32_e32 v5, 0x3377d1cf, v3
	s_delay_alu instid0(VALU_DEP_1) | instskip(SKIP_2) | instid1(VALU_DEP_3)
	v_add_f32_e32 v4, v4, v5
	v_cndmask_b32_e64 v5, 0, 0x41b17218, vcc_lo
	v_cmp_gt_f32_e64 vcc_lo, 0x7f800000, |v3|
	v_cndmask_b32_e32 v3, v3, v4, vcc_lo
	s_delay_alu instid0(VALU_DEP_1) | instskip(NEXT) | instid1(VALU_DEP_1)
	v_sub_f32_e32 v3, v3, v5
	v_div_scale_f32 v4, null, v32, v32, v3
	v_div_scale_f32 v7, vcc_lo, v3, v32, v3
	s_delay_alu instid0(VALU_DEP_2) | instskip(SKIP_2) | instid1(VALU_DEP_1)
	v_rcp_f32_e32 v5, v4
	s_waitcnt_depctr 0xfff
	v_fma_f32 v6, -v4, v5, 1.0
	v_fmac_f32_e32 v5, v6, v5
	s_delay_alu instid0(VALU_DEP_1) | instskip(NEXT) | instid1(VALU_DEP_1)
	v_mul_f32_e32 v6, v7, v5
	v_fma_f32 v15, -v4, v6, v7
	s_delay_alu instid0(VALU_DEP_1) | instskip(NEXT) | instid1(VALU_DEP_1)
	v_fmac_f32_e32 v6, v15, v5
	v_fma_f32 v4, -v4, v6, v7
	s_delay_alu instid0(VALU_DEP_1) | instskip(SKIP_1) | instid1(VALU_DEP_2)
	v_div_fmas_f32 v4, v4, v5, v6
	v_add_nc_u32_e32 v6, s12, v42
	v_div_fixup_f32 v3, v4, v32, v3
	s_delay_alu instid0(VALU_DEP_1) | instskip(NEXT) | instid1(VALU_DEP_1)
	v_ceil_f32_e32 v3, v3
	v_mul_f32_e64 v4, 0x2f800000, |v3|
	v_ashrrev_i32_e32 v7, 31, v3
	s_delay_alu instid0(VALU_DEP_2) | instskip(NEXT) | instid1(VALU_DEP_1)
	v_floor_f32_e32 v4, v4
	v_fma_f32 v5, 0xcf800000, v4, |v3|
	v_cvt_u32_f32_e32 v3, v4
	s_delay_alu instid0(VALU_DEP_2) | instskip(SKIP_1) | instid1(VALU_DEP_3)
	v_cvt_u32_f32_e32 v4, v5
	v_ashrrev_i32_e32 v5, 31, v6
	v_xor_b32_e32 v15, v3, v7
	v_add_co_u32 v3, vcc_lo, s6, v6
	s_delay_alu instid0(VALU_DEP_4) | instskip(NEXT) | instid1(VALU_DEP_4)
	v_xor_b32_e32 v44, v4, v7
	v_add_co_ci_u32_e32 v4, vcc_lo, s7, v5, vcc_lo
	s_delay_alu instid0(VALU_DEP_2)
	v_sub_co_u32 v5, vcc_lo, v44, v7
	v_sub_co_ci_u32_e32 v6, vcc_lo, v15, v7, vcc_lo
	global_store_b64 v[3:4], v[5:6], off
.LBB12_14:                              ;   in Loop: Header=BB12_8 Depth=1
	s_or_b32 exec_lo, exec_lo, s13
	v_add_co_u32 v3, vcc_lo, s1, v10
	v_add_co_ci_u32_e32 v4, vcc_lo, 0, v11, vcc_lo
	s_mov_b32 s13, exec_lo
	s_delay_alu instid0(VALU_DEP_1)
	v_cmpx_gt_i64_e64 s[4:5], v[3:4]
	s_cbranch_execz .LBB12_16
; %bb.15:                               ;   in Loop: Header=BB12_8 Depth=1
	v_add_nc_u32_e32 v3, s12, v41
	s_delay_alu instid0(VALU_DEP_1) | instskip(SKIP_1) | instid1(VALU_DEP_2)
	v_ashrrev_i32_e32 v4, 31, v3
	v_add_co_u32 v3, vcc_lo, s6, v3
	v_add_co_ci_u32_e32 v4, vcc_lo, s7, v4, vcc_lo
	global_store_b64 v[3:4], v[12:13], off
.LBB12_16:                              ;   in Loop: Header=BB12_8 Depth=1
	s_or_b32 exec_lo, exec_lo, s13
	v_add_co_u32 v3, vcc_lo, s10, v10
	v_add_co_ci_u32_e32 v4, vcc_lo, 0, v11, vcc_lo
	s_mov_b32 s13, exec_lo
	s_delay_alu instid0(VALU_DEP_1)
	v_cmpx_gt_i64_e64 s[4:5], v[3:4]
	s_cbranch_execz .LBB12_7
; %bb.17:                               ;   in Loop: Header=BB12_8 Depth=1
	v_add_nc_u32_e32 v3, s12, v40
	s_delay_alu instid0(VALU_DEP_1) | instskip(SKIP_1) | instid1(VALU_DEP_2)
	v_ashrrev_i32_e32 v4, 31, v3
	v_add_co_u32 v3, vcc_lo, s6, v3
	v_add_co_ci_u32_e32 v4, vcc_lo, s7, v4, vcc_lo
	global_store_b64 v[3:4], v[12:13], off
	s_branch .LBB12_7
.LBB12_18:                              ;   in Loop: Header=BB12_8 Depth=1
	s_mov_b32 s14, exec_lo
	v_cmpx_lt_i32_e32 2, v16
	s_xor_b32 s14, exec_lo, s14
; %bb.19:                               ;   in Loop: Header=BB12_8 Depth=1
	v_dual_mov_b32 v4, v6 :: v_dual_mov_b32 v5, v0
	v_mov_b32_e32 v6, v1
	s_delay_alu instid0(VALU_DEP_2) | instskip(NEXT) | instid1(VALU_DEP_3)
	v_mov_b32_e32 v3, v4
	v_mov_b32_e32 v4, v5
	s_delay_alu instid0(VALU_DEP_3)
	v_mov_b32_e32 v5, v6
	v_mov_b32_e32 v6, v7
; %bb.20:                               ;   in Loop: Header=BB12_8 Depth=1
	s_and_not1_saveexec_b32 s14, s14
; %bb.21:                               ;   in Loop: Header=BB12_8 Depth=1
	s_delay_alu instid0(VALU_DEP_1)
	v_dual_mov_b32 v3, v5 :: v_dual_mov_b32 v4, v6
	v_dual_mov_b32 v5, v0 :: v_dual_mov_b32 v6, v1
; %bb.22:                               ;   in Loop: Header=BB12_8 Depth=1
	s_or_b32 exec_lo, exec_lo, s14
	s_and_not1_saveexec_b32 s13, s13
	s_cbranch_execz .LBB12_10
.LBB12_23:                              ;   in Loop: Header=BB12_8 Depth=1
	s_mov_b32 s14, exec_lo
	v_cmpx_eq_u32_e32 1, v16
; %bb.24:                               ;   in Loop: Header=BB12_8 Depth=1
	v_dual_mov_b32 v3, v4 :: v_dual_mov_b32 v4, v5
	v_dual_mov_b32 v5, v6 :: v_dual_mov_b32 v6, v0
; %bb.25:                               ;   in Loop: Header=BB12_8 Depth=1
	s_or_b32 exec_lo, exec_lo, s14
	s_delay_alu instid0(SALU_CYCLE_1) | instskip(NEXT) | instid1(SALU_CYCLE_1)
	s_or_b32 exec_lo, exec_lo, s13
	s_mov_b32 s13, exec_lo
	v_cmpx_gt_i64_e64 s[4:5], v[10:11]
	s_cbranch_execnz .LBB12_11
	s_branch .LBB12_12
.LBB12_26:
	s_endpgm
.LBB12_27:
                                        ; implicit-def: $sgpr2_sgpr3
	s_branch .LBB12_4
	.section	.rodata,"a",@progbits
	.p2align	6, 0x0
	.amdhsa_kernel _ZN2at6native12_GLOBAL__N_143distribution_elementwise_grid_stride_kernelIfLi4EZNS0_9templates4cuda21uniform_and_transformIlfPNS_17CUDAGeneratorImplEZZZNS4_16geometric_kernelIS7_EEvRNS_18TensorIteratorBaseEdT_ENKUlvE_clEvENKUlvE2_clEvEUlfE_EEvSA_T1_T2_EUlP25hiprandStatePhilox4_32_10E_ZNS1_27distribution_nullary_kernelIlf15HIP_vector_typeIdLj2EES7_SJ_SE_EEvSA_SG_RKT3_T4_EUlifE_EEvlNS_15PhiloxCudaStateESF_SG_
		.amdhsa_group_segment_fixed_size 0
		.amdhsa_private_segment_fixed_size 0
		.amdhsa_kernarg_size 328
		.amdhsa_user_sgpr_count 15
		.amdhsa_user_sgpr_dispatch_ptr 0
		.amdhsa_user_sgpr_queue_ptr 0
		.amdhsa_user_sgpr_kernarg_segment_ptr 1
		.amdhsa_user_sgpr_dispatch_id 0
		.amdhsa_user_sgpr_private_segment_size 0
		.amdhsa_wavefront_size32 1
		.amdhsa_uses_dynamic_stack 0
		.amdhsa_enable_private_segment 0
		.amdhsa_system_sgpr_workgroup_id_x 1
		.amdhsa_system_sgpr_workgroup_id_y 0
		.amdhsa_system_sgpr_workgroup_id_z 0
		.amdhsa_system_sgpr_workgroup_info 0
		.amdhsa_system_vgpr_workitem_id 0
		.amdhsa_next_free_vgpr 49
		.amdhsa_next_free_sgpr 23
		.amdhsa_reserve_vcc 1
		.amdhsa_float_round_mode_32 0
		.amdhsa_float_round_mode_16_64 0
		.amdhsa_float_denorm_mode_32 3
		.amdhsa_float_denorm_mode_16_64 3
		.amdhsa_dx10_clamp 1
		.amdhsa_ieee_mode 1
		.amdhsa_fp16_overflow 0
		.amdhsa_workgroup_processor_mode 1
		.amdhsa_memory_ordered 1
		.amdhsa_forward_progress 0
		.amdhsa_shared_vgpr_count 0
		.amdhsa_exception_fp_ieee_invalid_op 0
		.amdhsa_exception_fp_denorm_src 0
		.amdhsa_exception_fp_ieee_div_zero 0
		.amdhsa_exception_fp_ieee_overflow 0
		.amdhsa_exception_fp_ieee_underflow 0
		.amdhsa_exception_fp_ieee_inexact 0
		.amdhsa_exception_int_div_zero 0
	.end_amdhsa_kernel
	.section	.text._ZN2at6native12_GLOBAL__N_143distribution_elementwise_grid_stride_kernelIfLi4EZNS0_9templates4cuda21uniform_and_transformIlfPNS_17CUDAGeneratorImplEZZZNS4_16geometric_kernelIS7_EEvRNS_18TensorIteratorBaseEdT_ENKUlvE_clEvENKUlvE2_clEvEUlfE_EEvSA_T1_T2_EUlP25hiprandStatePhilox4_32_10E_ZNS1_27distribution_nullary_kernelIlf15HIP_vector_typeIdLj2EES7_SJ_SE_EEvSA_SG_RKT3_T4_EUlifE_EEvlNS_15PhiloxCudaStateESF_SG_,"axG",@progbits,_ZN2at6native12_GLOBAL__N_143distribution_elementwise_grid_stride_kernelIfLi4EZNS0_9templates4cuda21uniform_and_transformIlfPNS_17CUDAGeneratorImplEZZZNS4_16geometric_kernelIS7_EEvRNS_18TensorIteratorBaseEdT_ENKUlvE_clEvENKUlvE2_clEvEUlfE_EEvSA_T1_T2_EUlP25hiprandStatePhilox4_32_10E_ZNS1_27distribution_nullary_kernelIlf15HIP_vector_typeIdLj2EES7_SJ_SE_EEvSA_SG_RKT3_T4_EUlifE_EEvlNS_15PhiloxCudaStateESF_SG_,comdat
.Lfunc_end12:
	.size	_ZN2at6native12_GLOBAL__N_143distribution_elementwise_grid_stride_kernelIfLi4EZNS0_9templates4cuda21uniform_and_transformIlfPNS_17CUDAGeneratorImplEZZZNS4_16geometric_kernelIS7_EEvRNS_18TensorIteratorBaseEdT_ENKUlvE_clEvENKUlvE2_clEvEUlfE_EEvSA_T1_T2_EUlP25hiprandStatePhilox4_32_10E_ZNS1_27distribution_nullary_kernelIlf15HIP_vector_typeIdLj2EES7_SJ_SE_EEvSA_SG_RKT3_T4_EUlifE_EEvlNS_15PhiloxCudaStateESF_SG_, .Lfunc_end12-_ZN2at6native12_GLOBAL__N_143distribution_elementwise_grid_stride_kernelIfLi4EZNS0_9templates4cuda21uniform_and_transformIlfPNS_17CUDAGeneratorImplEZZZNS4_16geometric_kernelIS7_EEvRNS_18TensorIteratorBaseEdT_ENKUlvE_clEvENKUlvE2_clEvEUlfE_EEvSA_T1_T2_EUlP25hiprandStatePhilox4_32_10E_ZNS1_27distribution_nullary_kernelIlf15HIP_vector_typeIdLj2EES7_SJ_SE_EEvSA_SG_RKT3_T4_EUlifE_EEvlNS_15PhiloxCudaStateESF_SG_
                                        ; -- End function
	.section	.AMDGPU.csdata,"",@progbits
; Kernel info:
; codeLenInByte = 4404
; NumSgprs: 25
; NumVgprs: 49
; ScratchSize: 0
; MemoryBound: 0
; FloatMode: 240
; IeeeMode: 1
; LDSByteSize: 0 bytes/workgroup (compile time only)
; SGPRBlocks: 3
; VGPRBlocks: 6
; NumSGPRsForWavesPerEU: 25
; NumVGPRsForWavesPerEU: 49
; Occupancy: 16
; WaveLimiterHint : 0
; COMPUTE_PGM_RSRC2:SCRATCH_EN: 0
; COMPUTE_PGM_RSRC2:USER_SGPR: 15
; COMPUTE_PGM_RSRC2:TRAP_HANDLER: 0
; COMPUTE_PGM_RSRC2:TGID_X_EN: 1
; COMPUTE_PGM_RSRC2:TGID_Y_EN: 0
; COMPUTE_PGM_RSRC2:TGID_Z_EN: 0
; COMPUTE_PGM_RSRC2:TIDIG_COMP_CNT: 0
	.section	.text._ZN2at6native12_GLOBAL__N_143distribution_elementwise_grid_stride_kernelIfLi4EZNS0_9templates4cuda21uniform_and_transformIlfPNS_17CUDAGeneratorImplEZZZNS4_16geometric_kernelIS7_EEvRNS_18TensorIteratorBaseEdT_ENKUlvE_clEvENKUlvE2_clEvEUlfE_EEvSA_T1_T2_EUlP25hiprandStatePhilox4_32_10E_ZNS1_27distribution_nullary_kernelIlf15HIP_vector_typeIdLj2EES7_SJ_SE_EEvSA_SG_RKT3_T4_EUlifE0_EEvlNS_15PhiloxCudaStateESF_SG_,"axG",@progbits,_ZN2at6native12_GLOBAL__N_143distribution_elementwise_grid_stride_kernelIfLi4EZNS0_9templates4cuda21uniform_and_transformIlfPNS_17CUDAGeneratorImplEZZZNS4_16geometric_kernelIS7_EEvRNS_18TensorIteratorBaseEdT_ENKUlvE_clEvENKUlvE2_clEvEUlfE_EEvSA_T1_T2_EUlP25hiprandStatePhilox4_32_10E_ZNS1_27distribution_nullary_kernelIlf15HIP_vector_typeIdLj2EES7_SJ_SE_EEvSA_SG_RKT3_T4_EUlifE0_EEvlNS_15PhiloxCudaStateESF_SG_,comdat
	.globl	_ZN2at6native12_GLOBAL__N_143distribution_elementwise_grid_stride_kernelIfLi4EZNS0_9templates4cuda21uniform_and_transformIlfPNS_17CUDAGeneratorImplEZZZNS4_16geometric_kernelIS7_EEvRNS_18TensorIteratorBaseEdT_ENKUlvE_clEvENKUlvE2_clEvEUlfE_EEvSA_T1_T2_EUlP25hiprandStatePhilox4_32_10E_ZNS1_27distribution_nullary_kernelIlf15HIP_vector_typeIdLj2EES7_SJ_SE_EEvSA_SG_RKT3_T4_EUlifE0_EEvlNS_15PhiloxCudaStateESF_SG_ ; -- Begin function _ZN2at6native12_GLOBAL__N_143distribution_elementwise_grid_stride_kernelIfLi4EZNS0_9templates4cuda21uniform_and_transformIlfPNS_17CUDAGeneratorImplEZZZNS4_16geometric_kernelIS7_EEvRNS_18TensorIteratorBaseEdT_ENKUlvE_clEvENKUlvE2_clEvEUlfE_EEvSA_T1_T2_EUlP25hiprandStatePhilox4_32_10E_ZNS1_27distribution_nullary_kernelIlf15HIP_vector_typeIdLj2EES7_SJ_SE_EEvSA_SG_RKT3_T4_EUlifE0_EEvlNS_15PhiloxCudaStateESF_SG_
	.p2align	8
	.type	_ZN2at6native12_GLOBAL__N_143distribution_elementwise_grid_stride_kernelIfLi4EZNS0_9templates4cuda21uniform_and_transformIlfPNS_17CUDAGeneratorImplEZZZNS4_16geometric_kernelIS7_EEvRNS_18TensorIteratorBaseEdT_ENKUlvE_clEvENKUlvE2_clEvEUlfE_EEvSA_T1_T2_EUlP25hiprandStatePhilox4_32_10E_ZNS1_27distribution_nullary_kernelIlf15HIP_vector_typeIdLj2EES7_SJ_SE_EEvSA_SG_RKT3_T4_EUlifE0_EEvlNS_15PhiloxCudaStateESF_SG_,@function
_ZN2at6native12_GLOBAL__N_143distribution_elementwise_grid_stride_kernelIfLi4EZNS0_9templates4cuda21uniform_and_transformIlfPNS_17CUDAGeneratorImplEZZZNS4_16geometric_kernelIS7_EEvRNS_18TensorIteratorBaseEdT_ENKUlvE_clEvENKUlvE2_clEvEUlfE_EEvSA_T1_T2_EUlP25hiprandStatePhilox4_32_10E_ZNS1_27distribution_nullary_kernelIlf15HIP_vector_typeIdLj2EES7_SJ_SE_EEvSA_SG_RKT3_T4_EUlifE0_EEvlNS_15PhiloxCudaStateESF_SG_: ; @_ZN2at6native12_GLOBAL__N_143distribution_elementwise_grid_stride_kernelIfLi4EZNS0_9templates4cuda21uniform_and_transformIlfPNS_17CUDAGeneratorImplEZZZNS4_16geometric_kernelIS7_EEvRNS_18TensorIteratorBaseEdT_ENKUlvE_clEvENKUlvE2_clEvEUlfE_EEvSA_T1_T2_EUlP25hiprandStatePhilox4_32_10E_ZNS1_27distribution_nullary_kernelIlf15HIP_vector_typeIdLj2EES7_SJ_SE_EEvSA_SG_RKT3_T4_EUlifE0_EEvlNS_15PhiloxCudaStateESF_SG_
; %bb.0:
	s_clause 0x2
	s_load_b64 s[4:5], s[0:1], 0x10
	s_load_b128 s[16:19], s[0:1], 0x0
	s_load_b32 s2, s[0:1], 0x20
	s_waitcnt lgkmcnt(0)
	v_dual_mov_b32 v2, s4 :: v_dual_mov_b32 v3, s5
	v_dual_mov_b32 v8, s18 :: v_dual_mov_b32 v9, s19
	s_bitcmp0_b32 s2, 0
	s_mov_b32 s2, 0
	s_cbranch_scc1 .LBB13_2
; %bb.1:
	v_dual_mov_b32 v1, s4 :: v_dual_mov_b32 v2, s5
	v_dual_mov_b32 v4, s18 :: v_dual_mov_b32 v5, s19
	s_load_b64 s[4:5], s[0:1], 0x18
	flat_load_b64 v[2:3], v[1:2]
	flat_load_b64 v[8:9], v[4:5]
	s_waitcnt vmcnt(1) lgkmcnt(0)
	v_add_co_u32 v2, vcc_lo, v2, s4
	v_add_co_ci_u32_e32 v3, vcc_lo, s5, v3, vcc_lo
.LBB13_2:
	s_clause 0x1
	s_load_b32 s3, s[0:1], 0x154
	s_load_b32 s4, s[0:1], 0x148
	s_waitcnt lgkmcnt(0)
	s_and_b32 s5, s3, 0xffff
	s_add_u32 s6, s16, -1
	s_mul_i32 s24, s4, s5
	s_addc_u32 s3, s17, -1
	s_lshl_b32 s25, s24, 2
	s_cmp_lg_u64 s[2:3], 0
	s_cbranch_scc0 .LBB13_79
; %bb.3:
	v_cvt_f32_ubyte0_e32 v1, 0
	v_cvt_f32_u32_e32 v4, s25
	s_sub_u32 s8, 0, s25
	s_subb_u32 s9, 0, 0
	s_delay_alu instid0(VALU_DEP_1) | instskip(NEXT) | instid1(VALU_DEP_1)
	v_fmamk_f32 v1, v1, 0x4f800000, v4
	v_rcp_f32_e32 v1, v1
	s_waitcnt_depctr 0xfff
	v_mul_f32_e32 v1, 0x5f7ffffc, v1
	s_delay_alu instid0(VALU_DEP_1) | instskip(NEXT) | instid1(VALU_DEP_1)
	v_mul_f32_e32 v4, 0x2f800000, v1
	v_trunc_f32_e32 v4, v4
	s_delay_alu instid0(VALU_DEP_1) | instskip(SKIP_1) | instid1(VALU_DEP_2)
	v_fmamk_f32 v1, v4, 0xcf800000, v1
	v_cvt_u32_f32_e32 v4, v4
	v_cvt_u32_f32_e32 v1, v1
	s_delay_alu instid0(VALU_DEP_2) | instskip(NEXT) | instid1(VALU_DEP_2)
	v_readfirstlane_b32 s2, v4
	v_readfirstlane_b32 s7, v1
	s_delay_alu instid0(VALU_DEP_2) | instskip(NEXT) | instid1(VALU_DEP_1)
	s_mul_i32 s10, s8, s2
	s_mul_hi_u32 s12, s8, s7
	s_mul_i32 s11, s9, s7
	s_add_i32 s10, s12, s10
	s_mul_i32 s13, s8, s7
	s_add_i32 s10, s10, s11
	s_mul_hi_u32 s12, s7, s13
	s_mul_hi_u32 s14, s2, s13
	s_mul_i32 s11, s2, s13
	s_mul_hi_u32 s13, s7, s10
	s_mul_i32 s7, s7, s10
	s_mul_hi_u32 s18, s2, s10
	s_add_u32 s7, s12, s7
	s_addc_u32 s12, 0, s13
	s_add_u32 s7, s7, s11
	s_mul_i32 s10, s2, s10
	s_addc_u32 s7, s12, s14
	s_addc_u32 s11, s18, 0
	s_add_u32 s7, s7, s10
	s_addc_u32 s10, 0, s11
	v_add_co_u32 v1, s7, v1, s7
	s_delay_alu instid0(VALU_DEP_1) | instskip(SKIP_1) | instid1(VALU_DEP_1)
	s_cmp_lg_u32 s7, 0
	s_addc_u32 s2, s2, s10
	v_readfirstlane_b32 s7, v1
	s_mul_i32 s10, s8, s2
	s_delay_alu instid0(VALU_DEP_1)
	s_mul_hi_u32 s11, s8, s7
	s_mul_i32 s9, s9, s7
	s_add_i32 s10, s11, s10
	s_mul_i32 s8, s8, s7
	s_add_i32 s10, s10, s9
	s_mul_hi_u32 s11, s2, s8
	s_mul_i32 s12, s2, s8
	s_mul_hi_u32 s8, s7, s8
	s_mul_hi_u32 s13, s7, s10
	s_mul_i32 s7, s7, s10
	s_mul_hi_u32 s9, s2, s10
	s_add_u32 s7, s8, s7
	s_addc_u32 s8, 0, s13
	s_add_u32 s7, s7, s12
	s_mul_i32 s10, s2, s10
	s_addc_u32 s7, s8, s11
	s_addc_u32 s8, s9, 0
	s_add_u32 s7, s7, s10
	s_addc_u32 s8, 0, s8
	v_add_co_u32 v1, s7, v1, s7
	s_delay_alu instid0(VALU_DEP_1) | instskip(SKIP_2) | instid1(VALU_DEP_1)
	s_cmp_lg_u32 s7, 0
	s_addc_u32 s7, s2, s8
	s_ashr_i32 s8, s3, 31
	v_readfirstlane_b32 s10, v1
	s_add_u32 s2, s6, s8
	s_mov_b32 s9, s8
	s_addc_u32 s3, s3, s8
	s_delay_alu instid0(SALU_CYCLE_1) | instskip(NEXT) | instid1(SALU_CYCLE_1)
	s_xor_b64 s[2:3], s[2:3], s[8:9]
	s_mul_i32 s12, s2, s7
	s_mul_hi_u32 s13, s2, s10
	s_mul_hi_u32 s11, s2, s7
	;; [unrolled: 1-line block ×3, first 2 shown]
	s_mul_i32 s10, s3, s10
	s_add_u32 s12, s13, s12
	s_addc_u32 s11, 0, s11
	s_mul_hi_u32 s14, s3, s7
	s_add_u32 s10, s12, s10
	s_mul_i32 s7, s3, s7
	s_addc_u32 s10, s11, s18
	s_addc_u32 s11, s14, 0
	s_add_u32 s7, s10, s7
	s_addc_u32 s10, 0, s11
	s_mul_i32 s12, s25, s7
	s_add_u32 s11, s7, 1
	v_sub_co_u32 v1, s2, s2, s12
	s_mul_hi_u32 s12, s25, s7
	s_addc_u32 s13, s10, 0
	s_mul_i32 s14, s25, s10
	s_delay_alu instid0(VALU_DEP_1)
	v_sub_co_u32 v4, s18, v1, s25
	s_add_u32 s19, s7, 2
	s_addc_u32 s20, s10, 0
	s_add_i32 s12, s12, s14
	s_cmp_lg_u32 s2, 0
	v_readfirstlane_b32 s2, v4
	s_subb_u32 s3, s3, s12
	s_cmp_lg_u32 s18, 0
	s_subb_u32 s12, s3, 0
	s_delay_alu instid0(VALU_DEP_1) | instskip(SKIP_4) | instid1(SALU_CYCLE_1)
	s_cmp_ge_u32 s2, s25
	s_cselect_b32 s2, -1, 0
	s_cmp_eq_u32 s12, 0
	v_readfirstlane_b32 s12, v1
	s_cselect_b32 s2, s2, -1
	s_cmp_lg_u32 s2, 0
	s_cselect_b32 s2, s19, s11
	s_cselect_b32 s11, s20, s13
	s_cmp_ge_u32 s12, s25
	s_cselect_b32 s12, -1, 0
	s_cmp_eq_u32 s3, 0
	s_cselect_b32 s3, s12, -1
	s_delay_alu instid0(SALU_CYCLE_1) | instskip(SKIP_2) | instid1(SALU_CYCLE_1)
	s_cmp_lg_u32 s3, 0
	s_cselect_b32 s3, s11, s10
	s_cselect_b32 s2, s2, s7
	s_xor_b64 s[2:3], s[2:3], s[8:9]
	s_delay_alu instid0(SALU_CYCLE_1)
	s_sub_u32 s2, s2, s8
	s_subb_u32 s3, s3, s8
	s_cbranch_execnz .LBB13_5
.LBB13_4:
	v_cvt_f32_u32_e32 v1, s25
	s_sub_i32 s3, 0, s25
	s_delay_alu instid0(VALU_DEP_1) | instskip(SKIP_2) | instid1(VALU_DEP_1)
	v_rcp_iflag_f32_e32 v1, v1
	s_waitcnt_depctr 0xfff
	v_mul_f32_e32 v1, 0x4f7ffffe, v1
	v_cvt_u32_f32_e32 v1, v1
	s_delay_alu instid0(VALU_DEP_1) | instskip(NEXT) | instid1(VALU_DEP_1)
	v_readfirstlane_b32 s2, v1
	s_mul_i32 s3, s3, s2
	s_delay_alu instid0(SALU_CYCLE_1) | instskip(NEXT) | instid1(SALU_CYCLE_1)
	s_mul_hi_u32 s3, s2, s3
	s_add_i32 s2, s2, s3
	s_delay_alu instid0(SALU_CYCLE_1) | instskip(NEXT) | instid1(SALU_CYCLE_1)
	s_mul_hi_u32 s2, s6, s2
	s_mul_i32 s3, s2, s25
	s_delay_alu instid0(SALU_CYCLE_1)
	s_sub_i32 s3, s6, s3
	s_add_i32 s6, s2, 1
	s_sub_i32 s7, s3, s25
	s_cmp_ge_u32 s3, s25
	s_cselect_b32 s2, s6, s2
	s_cselect_b32 s3, s7, s3
	s_add_i32 s6, s2, 1
	s_cmp_ge_u32 s3, s25
	s_mov_b32 s3, 0
	s_cselect_b32 s2, s6, s2
.LBB13_5:
	v_mov_b32_e32 v1, 0
	s_add_u32 s2, s2, 1
	s_addc_u32 s3, s3, 0
	s_mul_hi_u32 s6, s24, s2
	s_mul_i32 s3, s24, s3
	v_mad_u64_u32 v[10:11], null, s5, s15, v[0:1]
	s_mul_hi_u32 s4, s4, s5
	s_add_i32 s3, s6, s3
	s_mul_i32 s4, s4, s2
	s_mul_i32 s2, s24, s2
	s_add_i32 s3, s3, s4
	s_mov_b32 s4, exec_lo
	s_lshl_b64 s[2:3], s[2:3], 2
	s_delay_alu instid0(SALU_CYCLE_1)
	v_cmpx_gt_i64_e64 s[2:3], v[10:11]
	s_cbranch_execz .LBB13_78
; %bb.6:
	s_load_b128 s[12:15], s[0:1], 0x138
	s_mov_b32 s4, 0x3e9b6dac
	v_alignbit_b32 v24, v3, v2, 2
	v_lshrrev_b32_e32 v25, 2, v3
	s_waitcnt vmcnt(0)
	v_add_co_u32 v23, null, 0x9e3779b9, v8
	v_add_co_u32 v26, null, 0x3c6ef372, v8
	;; [unrolled: 1-line block ×8, first 2 shown]
	s_waitcnt lgkmcnt(0)
	v_cvt_f32_f64_e32 v7, s[14:15]
	s_add_u32 s18, s0, 48
	s_load_b64 s[14:15], s[0:1], 0xf4
	s_addc_u32 s19, s1, 0
	v_mov_b32_e32 v34, v10
	v_mov_b32_e32 v40, v11
	s_mov_b32 s26, 0
	s_mul_i32 s33, s24, 3
	s_delay_alu instid0(VALU_DEP_3) | instskip(NEXT) | instid1(VALU_DEP_1)
	v_dual_sub_f32 v4, 1.0, v7 :: v_dual_add_nc_u32 v19, 0x96a522ad, v9
	v_cvt_f64_f32_e32 v[0:1], v4
	s_delay_alu instid0(VALU_DEP_1) | instskip(SKIP_1) | instid1(VALU_DEP_1)
	v_frexp_exp_i32_f64_e32 v0, v[0:1]
	v_frexp_mant_f32_e32 v1, v4
	v_cmp_gt_f32_e32 vcc_lo, 0x3f2aaaab, v1
	v_add_f32_e32 v1, -1.0, v4
	s_delay_alu instid0(VALU_DEP_1) | instskip(NEXT) | instid1(VALU_DEP_1)
	v_sub_f32_e32 v6, v1, v4
	v_add_f32_e32 v6, 1.0, v6
	v_sub_f32_e64 v1, -v7, v1
	s_delay_alu instid0(VALU_DEP_1) | instskip(SKIP_2) | instid1(VALU_DEP_2)
	v_add_f32_e32 v1, v1, v6
	v_subrev_co_ci_u32_e32 v0, vcc_lo, 0, v0, vcc_lo
	v_cmp_eq_f32_e32 vcc_lo, 0xff800000, v7
	v_sub_nc_u32_e32 v5, 0, v0
	v_cvt_f32_i32_e32 v0, v0
	s_delay_alu instid0(VALU_DEP_2) | instskip(SKIP_1) | instid1(VALU_DEP_2)
	v_ldexp_f32 v4, v4, v5
	v_ldexp_f32 v1, v1, v5
	v_add_f32_e32 v5, -1.0, v4
	v_add_f32_e32 v12, 1.0, v4
	s_delay_alu instid0(VALU_DEP_1) | instskip(NEXT) | instid1(VALU_DEP_1)
	v_add_f32_e32 v6, -1.0, v12
	v_dual_sub_f32 v6, v4, v6 :: v_dual_add_f32 v13, 1.0, v5
	s_delay_alu instid0(VALU_DEP_1) | instskip(NEXT) | instid1(VALU_DEP_2)
	v_add_f32_e32 v6, v1, v6
	v_sub_f32_e32 v4, v4, v13
	s_delay_alu instid0(VALU_DEP_1) | instskip(NEXT) | instid1(VALU_DEP_1)
	v_add_f32_e32 v1, v1, v4
	v_add_f32_e32 v14, v5, v1
	s_delay_alu instid0(VALU_DEP_1) | instskip(SKIP_1) | instid1(VALU_DEP_1)
	v_sub_f32_e32 v5, v14, v5
	v_add_f32_e32 v13, v12, v6
	v_rcp_f32_e32 v4, v13
	v_sub_f32_e32 v12, v13, v12
	s_waitcnt_depctr 0xfff
	v_mul_f32_e32 v15, v14, v4
	v_sub_f32_e32 v6, v6, v12
	s_delay_alu instid0(VALU_DEP_2) | instskip(NEXT) | instid1(VALU_DEP_1)
	v_mul_f32_e32 v16, v13, v15
	v_fma_f32 v12, v15, v13, -v16
	s_delay_alu instid0(VALU_DEP_1) | instskip(NEXT) | instid1(VALU_DEP_1)
	v_dual_fmac_f32 v12, v15, v6 :: v_dual_sub_f32 v1, v1, v5
	v_add_f32_e32 v17, v16, v12
	s_delay_alu instid0(VALU_DEP_1) | instskip(NEXT) | instid1(VALU_DEP_1)
	v_dual_sub_f32 v5, v17, v16 :: v_dual_sub_f32 v18, v14, v17
	v_dual_sub_f32 v5, v5, v12 :: v_dual_sub_f32 v14, v14, v18
	s_delay_alu instid0(VALU_DEP_1) | instskip(NEXT) | instid1(VALU_DEP_1)
	v_sub_f32_e32 v14, v14, v17
	v_add_f32_e32 v1, v1, v14
	s_delay_alu instid0(VALU_DEP_1) | instskip(NEXT) | instid1(VALU_DEP_1)
	v_add_f32_e32 v1, v5, v1
	v_add_f32_e32 v5, v18, v1
	s_delay_alu instid0(VALU_DEP_1) | instskip(NEXT) | instid1(VALU_DEP_1)
	v_mul_f32_e32 v12, v4, v5
	v_dual_sub_f32 v17, v18, v5 :: v_dual_mul_f32 v14, v13, v12
	s_delay_alu instid0(VALU_DEP_1) | instskip(NEXT) | instid1(VALU_DEP_1)
	v_fma_f32 v13, v12, v13, -v14
	v_fmac_f32_e32 v13, v12, v6
	s_delay_alu instid0(VALU_DEP_1) | instskip(NEXT) | instid1(VALU_DEP_4)
	v_add_f32_e32 v6, v14, v13
	v_add_f32_e32 v1, v1, v17
	v_and_b32_e32 v17, 3, v2
	s_delay_alu instid0(VALU_DEP_3) | instskip(NEXT) | instid1(VALU_DEP_1)
	v_sub_f32_e32 v16, v5, v6
	v_sub_f32_e32 v5, v5, v16
	s_delay_alu instid0(VALU_DEP_1) | instskip(NEXT) | instid1(VALU_DEP_1)
	v_sub_f32_e32 v5, v5, v6
	v_add_f32_e32 v1, v1, v5
	v_dual_add_f32 v5, v15, v12 :: v_dual_sub_f32 v14, v6, v14
	s_delay_alu instid0(VALU_DEP_1) | instskip(NEXT) | instid1(VALU_DEP_1)
	v_sub_f32_e32 v6, v14, v13
	v_dual_add_f32 v1, v6, v1 :: v_dual_sub_f32 v6, v5, v15
	s_delay_alu instid0(VALU_DEP_1) | instskip(NEXT) | instid1(VALU_DEP_2)
	v_add_f32_e32 v1, v16, v1
	v_sub_f32_e32 v6, v12, v6
	s_delay_alu instid0(VALU_DEP_2) | instskip(NEXT) | instid1(VALU_DEP_1)
	v_mul_f32_e32 v1, v4, v1
	v_add_f32_e32 v1, v6, v1
	s_delay_alu instid0(VALU_DEP_1) | instskip(NEXT) | instid1(VALU_DEP_1)
	v_add_f32_e32 v4, v5, v1
	v_mul_f32_e32 v6, v4, v4
	s_delay_alu instid0(VALU_DEP_1)
	v_fmaak_f32 v12, s4, v6, 0x3ecc95a3
	v_mul_f32_e32 v13, v4, v6
	s_load_b256 s[4:11], s[0:1], 0x30
	s_waitcnt lgkmcnt(0)
	v_cmp_gt_f32_e64 s11, 0x33800000, |v7|
	v_fmaak_f32 v6, v6, v12, 0x3f2aaada
	v_ldexp_f32 v12, v4, 1
	v_sub_f32_e32 v4, v4, v5
	s_delay_alu instid0(VALU_DEP_3) | instskip(NEXT) | instid1(VALU_DEP_2)
	v_dual_mul_f32 v6, v13, v6 :: v_dual_mul_f32 v13, 0x3f317218, v0
	v_sub_f32_e32 v1, v1, v4
	s_delay_alu instid0(VALU_DEP_2) | instskip(NEXT) | instid1(VALU_DEP_1)
	v_add_f32_e32 v5, v12, v6
	v_sub_f32_e32 v4, v5, v12
	s_delay_alu instid0(VALU_DEP_4) | instskip(SKIP_1) | instid1(SALU_CYCLE_1)
	v_fma_f32 v12, 0x3f317218, v0, -v13
	s_add_i32 s20, s4, -1
	s_cmp_gt_u32 s20, 1
	s_delay_alu instid0(VALU_DEP_2) | instskip(NEXT) | instid1(VALU_DEP_2)
	v_sub_f32_e32 v4, v6, v4
	v_fmamk_f32 v6, v0, 0xb102e308, v12
	v_ldexp_f32 v1, v1, 1
	s_delay_alu instid0(VALU_DEP_2) | instskip(NEXT) | instid1(VALU_DEP_1)
	v_add_f32_e32 v12, v13, v6
	v_dual_sub_f32 v3, v12, v13 :: v_dual_add_f32 v4, v1, v4
	v_mad_u64_u32 v[0:1], null, 0xcd9e8d57, v10, 0
	s_delay_alu instid0(VALU_DEP_2) | instskip(SKIP_1) | instid1(VALU_DEP_3)
	v_dual_sub_f32 v6, v6, v3 :: v_dual_add_f32 v15, v5, v4
	v_mov_b32_e32 v14, v9
	v_xor3_b32 v1, v8, v1, v25
	s_delay_alu instid0(VALU_DEP_3) | instskip(NEXT) | instid1(VALU_DEP_3)
	v_dual_sub_f32 v5, v15, v5 :: v_dual_add_f32 v16, v12, v15
	v_add_co_u32 v30, null, 0xbb67ae85, v14
	v_add_co_u32 v31, null, 0x76cf5d0a, v14
	s_delay_alu instid0(VALU_DEP_3) | instskip(SKIP_2) | instid1(VALU_DEP_3)
	v_sub_f32_e32 v2, v16, v12
	v_add_co_u32 v36, null, 0xed9eba14, v14
	v_add_co_u32 v37, null, 0xa9066899, v14
	v_sub_f32_e32 v13, v16, v2
	v_sub_f32_e32 v4, v4, v5
	;; [unrolled: 1-line block ×3, first 2 shown]
	v_log_f32_e32 v15, s0
	v_add_co_u32 v35, null, 0xdb3d7428, v14
	s_delay_alu instid0(VALU_DEP_3) | instskip(SKIP_2) | instid1(VALU_DEP_3)
	v_add_f32_e32 v5, v6, v4
	v_dual_sub_f32 v3, v12, v13 :: v_dual_add_nc_u32 v18, 0x8ff34781, v8
	v_add_co_u32 v38, null, 0x646e171e, v14
	v_sub_f32_e32 v12, v5, v6
	v_add_co_u32 v39, null, 0x1fd5c5a3, v14
	s_delay_alu instid0(VALU_DEP_4) | instskip(NEXT) | instid1(VALU_DEP_1)
	v_add_f32_e32 v2, v2, v3
	v_add_f32_e32 v13, v5, v2
	s_delay_alu instid0(VALU_DEP_4) | instskip(SKIP_2) | instid1(VALU_DEP_3)
	v_sub_f32_e32 v5, v5, v12
	v_mad_u64_u32 v[2:3], null, 0xd2511f53, v24, 0
	v_sub_f32_e32 v12, v4, v12
	v_sub_f32_e32 v6, v6, v5
	v_mad_u64_u32 v[4:5], null, 0xd2511f53, v1, 0
	s_delay_alu instid0(VALU_DEP_4) | instskip(NEXT) | instid1(VALU_DEP_3)
	v_xor_b32_e32 v1, v3, v9
	v_add_f32_e32 v3, v12, v6
	v_add_f32_e32 v32, v16, v13
	s_delay_alu instid0(VALU_DEP_3) | instskip(NEXT) | instid1(VALU_DEP_2)
	v_xor_b32_e32 v12, v1, v11
	v_sub_f32_e32 v16, v32, v16
	s_delay_alu instid0(VALU_DEP_1) | instskip(SKIP_1) | instid1(VALU_DEP_4)
	v_sub_f32_e32 v6, v13, v16
	v_xor3_b32 v16, v30, v5, v2
	v_mad_u64_u32 v[1:2], null, 0xcd9e8d57, v12, 0
	v_mul_f32_e32 v13, 0x3f317217, v15
	s_delay_alu instid0(VALU_DEP_4) | instskip(NEXT) | instid1(VALU_DEP_4)
	v_add_f32_e32 v3, v3, v6
	v_mad_u64_u32 v[5:6], null, 0xcd9e8d57, v16, 0
	s_delay_alu instid0(VALU_DEP_3) | instskip(NEXT) | instid1(VALU_DEP_3)
	v_fma_f32 v12, 0x3f317217, v15, -v13
	v_add_f32_e32 v3, v32, v3
	v_xor3_b32 v2, v23, v2, v0
	v_add_co_u32 v32, null, 0x32370b8f, v14
	v_xor3_b32 v6, v26, v6, v1
	s_delay_alu instid0(VALU_DEP_4) | instskip(SKIP_3) | instid1(VALU_DEP_4)
	v_cndmask_b32_e64 v3, v3, -v7, vcc_lo
	v_cmp_nlt_f32_e32 vcc_lo, 1.0, v7
	v_mad_u64_u32 v[0:1], null, 0xd2511f53, v2, 0
	v_fmac_f32_e32 v12, 0x3377d1cf, v15
	v_cndmask_b32_e32 v16, 0x7fc00000, v3, vcc_lo
	v_cmp_neq_f32_e32 vcc_lo, 1.0, v7
	v_mad_u64_u32 v[2:3], null, 0xd2511f53, v6, 0
	s_delay_alu instid0(VALU_DEP_4) | instskip(SKIP_4) | instid1(VALU_DEP_3)
	v_add_f32_e32 v12, v13, v12
	v_xor3_b32 v1, v31, v1, v4
	v_cndmask_b32_e32 v6, 0xff800000, v16, vcc_lo
	v_cmp_gt_f32_e64 vcc_lo, 0x7f800000, |v15|
	v_xor3_b32 v3, v32, v3, v0
	v_cndmask_b32_e64 v33, v6, -v7, s11
	v_cndmask_b32_e32 v12, v15, v12, vcc_lo
	v_mad_u64_u32 v[6:7], null, 0xcd9e8d57, v1, 0
	s_delay_alu instid0(VALU_DEP_4) | instskip(NEXT) | instid1(VALU_DEP_3)
	v_mad_u64_u32 v[0:1], null, 0xcd9e8d57, v3, 0
	v_div_scale_f32 v13, null, v33, v33, v12
	v_div_scale_f32 v16, vcc_lo, v12, v33, v12
	s_delay_alu instid0(VALU_DEP_4) | instskip(NEXT) | instid1(VALU_DEP_3)
	v_xor3_b32 v5, v22, v7, v5
	v_rcp_f32_e32 v15, v13
	s_delay_alu instid0(VALU_DEP_4) | instskip(SKIP_3) | instid1(VALU_DEP_2)
	v_xor3_b32 v1, v27, v1, v6
	s_cselect_b32 s11, -1, 0
	s_cmp_lg_u32 s4, 0
	v_mad_u64_u32 v[3:4], null, 0xd2511f53, v5, 0
	v_mad_u64_u32 v[5:6], null, 0xd2511f53, v1, 0
	s_cselect_b32 s27, -1, 0
	s_add_u32 s0, s0, 0xf4
	s_waitcnt_depctr 0xfff
	v_fma_f32 v7, -v13, v15, 1.0
	s_addc_u32 s1, s1, 0
	v_xor3_b32 v4, v36, v4, v2
	s_min_u32 s21, s20, 15
	v_xor3_b32 v6, v37, v6, v3
	v_fmac_f32_e32 v15, v7, v15
	s_cmp_gt_u32 s4, 1
	v_mad_u64_u32 v[1:2], null, 0xcd9e8d57, v4, 0
	s_cselect_b32 s4, -1, 0
	s_delay_alu instid0(VALU_DEP_2) | instskip(SKIP_4) | instid1(VALU_DEP_2)
	v_mul_f32_e32 v4, v16, v15
	s_add_i32 s21, s21, 1
	s_lshl_b32 s28, s24, 1
	s_and_b32 s29, s21, 3
	s_cmp_lg_u32 s20, 2
	v_xor3_b32 v0, v21, v2, v0
	v_fma_f32 v14, -v13, v4, v16
	v_mad_u64_u32 v[2:3], null, 0xcd9e8d57, v6, 0
	s_cselect_b32 s30, -1, 0
	s_delay_alu instid0(VALU_DEP_3) | instskip(NEXT) | instid1(VALU_DEP_3)
	v_mad_u64_u32 v[6:7], null, 0xd2511f53, v0, 0
	v_fmac_f32_e32 v4, v14, v15
	s_and_b32 s31, s21, 28
	s_cmp_lg_u32 s29, 0
	s_delay_alu instid0(VALU_DEP_3) | instskip(SKIP_2) | instid1(VALU_DEP_4)
	v_xor3_b32 v3, v28, v3, v1
	s_cselect_b32 s34, -1, 0
	v_fma_f32 v0, -v13, v4, v16
	v_xor3_b32 v5, v38, v7, v5
	s_delay_alu instid0(VALU_DEP_2) | instskip(SKIP_1) | instid1(VALU_DEP_3)
	v_div_fmas_f32 v7, v0, v15, v4
	v_mad_u64_u32 v[0:1], null, 0xd2511f53, v3, 0
	v_mad_u64_u32 v[3:4], null, 0xcd9e8d57, v5, 0
	s_delay_alu instid0(VALU_DEP_3) | instskip(NEXT) | instid1(VALU_DEP_3)
	v_div_fixup_f32 v5, v7, v33, v12
	v_xor3_b32 v6, v39, v1, v6
	s_delay_alu instid0(VALU_DEP_2) | instskip(NEXT) | instid1(VALU_DEP_4)
	v_ceil_f32_e32 v14, v5
	v_xor3_b32 v4, v20, v4, v2
	s_delay_alu instid0(VALU_DEP_3) | instskip(NEXT) | instid1(VALU_DEP_3)
	v_mad_u64_u32 v[1:2], null, 0xcd9e8d57, v6, 0
	v_mul_f32_e64 v5, 0x2f800000, |v14|
	s_delay_alu instid0(VALU_DEP_3) | instskip(NEXT) | instid1(VALU_DEP_2)
	v_mad_u64_u32 v[12:13], null, 0xd2511f53, v4, 0
	v_floor_f32_e32 v15, v5
	s_delay_alu instid0(VALU_DEP_4) | instskip(NEXT) | instid1(VALU_DEP_3)
	v_xor3_b32 v2, v29, v2, v3
	v_xor3_b32 v0, v35, v13, v0
	s_delay_alu instid0(VALU_DEP_3) | instskip(NEXT) | instid1(VALU_DEP_3)
	v_fma_f32 v3, 0xcf800000, v15, |v14|
	v_mad_u64_u32 v[6:7], null, 0xd2511f53, v2, 0
	v_cvt_u32_f32_e32 v13, v15
	s_delay_alu instid0(VALU_DEP_4) | instskip(SKIP_2) | instid1(VALU_DEP_1)
	v_mad_u64_u32 v[4:5], null, 0xcd9e8d57, v0, 0
	v_ashrrev_i32_e32 v0, 31, v14
	v_cvt_u32_f32_e32 v2, v3
	v_xor_b32_e32 v2, v2, v0
	s_delay_alu instid0(VALU_DEP_4) | instskip(SKIP_2) | instid1(VALU_DEP_4)
	v_xor3_b32 v3, v5, v1, v18
	v_xor_b32_e32 v1, v13, v0
	v_xor3_b32 v5, v7, v12, v19
	v_sub_co_u32 v12, vcc_lo, v2, v0
	s_delay_alu instid0(VALU_DEP_3)
	v_sub_co_ci_u32_e32 v13, vcc_lo, v1, v0, vcc_lo
	s_branch .LBB13_9
.LBB13_7:                               ;   in Loop: Header=BB13_9 Depth=1
	global_store_b64 v4, v[12:13], s[12:13]
.LBB13_8:                               ;   in Loop: Header=BB13_9 Depth=1
	s_or_b32 exec_lo, exec_lo, s35
	v_add_co_u32 v10, vcc_lo, v10, s25
	v_add_co_ci_u32_e32 v11, vcc_lo, 0, v11, vcc_lo
	v_mov_b32_e32 v3, v14
	s_waitcnt_vscnt null, 0x0
	s_barrier
	s_delay_alu instid0(VALU_DEP_2)
	v_cmp_le_i64_e32 vcc_lo, s[2:3], v[10:11]
	buffer_gl0_inv
	v_mov_b32_e32 v6, v3
	v_dual_mov_b32 v5, v2 :: v_dual_mov_b32 v4, v1
	v_mov_b32_e32 v3, v0
	s_or_b32 s26, vcc_lo, s26
	s_delay_alu instid0(SALU_CYCLE_1)
	s_and_not1_b32 exec_lo, exec_lo, s26
	s_cbranch_execz .LBB13_78
.LBB13_9:                               ; =>This Loop Header: Depth=1
                                        ;     Child Loop BB13_24 Depth 2
                                        ;     Child Loop BB13_29 Depth 2
	;; [unrolled: 1-line block ×8, first 2 shown]
	v_add_co_u32 v24, vcc_lo, v24, 1
	s_delay_alu instid0(VALU_DEP_1) | instskip(SKIP_2) | instid1(VALU_DEP_1)
	v_cndmask_b32_e64 v0, 0, 1, vcc_lo
	v_add_co_ci_u32_e32 v25, vcc_lo, 0, v25, vcc_lo
	s_mov_b32 s20, exec_lo
	v_cmp_eq_u32_e32 vcc_lo, 0, v25
	s_delay_alu instid0(VALU_DEP_3) | instskip(NEXT) | instid1(VALU_DEP_1)
	v_cndmask_b32_e32 v0, 0, v0, vcc_lo
	v_add_nc_u32_e32 v34, v0, v34
	s_delay_alu instid0(VALU_DEP_1) | instskip(SKIP_2) | instid1(VALU_DEP_2)
	v_cmp_eq_u32_e32 vcc_lo, 0, v34
	v_mad_u64_u32 v[14:15], null, 0xcd9e8d57, v34, 0
	v_cndmask_b32_e32 v0, 0, v0, vcc_lo
	v_xor3_b32 v7, v15, v8, v25
	s_delay_alu instid0(VALU_DEP_2) | instskip(SKIP_1) | instid1(VALU_DEP_1)
	v_add_nc_u32_e32 v40, v0, v40
	v_mad_u64_u32 v[0:1], null, 0xd2511f53, v24, 0
	v_xor_b32_e32 v1, v1, v9
	s_delay_alu instid0(VALU_DEP_1) | instskip(SKIP_1) | instid1(VALU_DEP_2)
	v_xor_b32_e32 v41, v40, v1
	v_mad_u64_u32 v[1:2], null, 0xd2511f53, v7, 0
	v_mad_u64_u32 v[15:16], null, 0xcd9e8d57, v41, 0
	s_delay_alu instid0(VALU_DEP_2) | instskip(NEXT) | instid1(VALU_DEP_2)
	v_xor3_b32 v0, v30, v2, v0
	v_xor3_b32 v2, v23, v16, v14
	s_delay_alu instid0(VALU_DEP_2) | instskip(NEXT) | instid1(VALU_DEP_2)
	v_mad_u64_u32 v[41:42], null, 0xcd9e8d57, v0, 0
	v_mad_u64_u32 v[43:44], null, 0xd2511f53, v2, 0
	s_delay_alu instid0(VALU_DEP_2) | instskip(NEXT) | instid1(VALU_DEP_2)
	v_xor3_b32 v2, v26, v42, v15
	v_xor3_b32 v7, v31, v44, v1
	s_delay_alu instid0(VALU_DEP_2) | instskip(NEXT) | instid1(VALU_DEP_2)
	;; [unrolled: 6-line block ×8, first 2 shown]
	v_mad_u64_u32 v[14:15], null, 0xd2511f53, v0, 0
	v_mad_u64_u32 v[1:2], null, 0xcd9e8d57, v7, 0
	s_delay_alu instid0(VALU_DEP_2) | instskip(NEXT) | instid1(VALU_DEP_2)
	v_xor3_b32 v7, v15, v43, v19
	v_xor3_b32 v0, v2, v41, v18
	s_delay_alu instid0(VALU_DEP_2)
	v_mov_b32_e32 v2, v7
	v_cmpx_lt_i32_e32 1, v17
	s_xor_b32 s20, exec_lo, s20
	s_cbranch_execnz .LBB13_12
; %bb.10:                               ;   in Loop: Header=BB13_9 Depth=1
	s_and_not1_saveexec_b32 s20, s20
	s_cbranch_execnz .LBB13_17
.LBB13_11:                              ;   in Loop: Header=BB13_9 Depth=1
	s_or_b32 exec_lo, exec_lo, s20
	s_delay_alu instid0(SALU_CYCLE_1)
	s_mov_b32 s35, exec_lo
	v_cmpx_gt_i64_e64 s[16:17], v[10:11]
	s_cbranch_execnz .LBB13_20
	s_branch .LBB13_34
.LBB13_12:                              ;   in Loop: Header=BB13_9 Depth=1
	s_mov_b32 s21, exec_lo
	v_cmpx_lt_i32_e32 2, v17
	s_xor_b32 s21, exec_lo, s21
; %bb.13:                               ;   in Loop: Header=BB13_9 Depth=1
	v_dual_mov_b32 v4, v6 :: v_dual_mov_b32 v5, v0
	v_mov_b32_e32 v6, v1
	s_delay_alu instid0(VALU_DEP_2) | instskip(NEXT) | instid1(VALU_DEP_3)
	v_mov_b32_e32 v3, v4
	v_mov_b32_e32 v4, v5
	s_delay_alu instid0(VALU_DEP_3)
	v_mov_b32_e32 v5, v6
	v_mov_b32_e32 v6, v7
; %bb.14:                               ;   in Loop: Header=BB13_9 Depth=1
	s_and_not1_saveexec_b32 s21, s21
; %bb.15:                               ;   in Loop: Header=BB13_9 Depth=1
	s_delay_alu instid0(VALU_DEP_1)
	v_dual_mov_b32 v3, v5 :: v_dual_mov_b32 v4, v6
	v_dual_mov_b32 v5, v0 :: v_dual_mov_b32 v6, v1
; %bb.16:                               ;   in Loop: Header=BB13_9 Depth=1
	s_or_b32 exec_lo, exec_lo, s21
	s_and_not1_saveexec_b32 s20, s20
	s_cbranch_execz .LBB13_11
.LBB13_17:                              ;   in Loop: Header=BB13_9 Depth=1
	s_mov_b32 s21, exec_lo
	v_cmpx_eq_u32_e32 1, v17
; %bb.18:                               ;   in Loop: Header=BB13_9 Depth=1
	v_dual_mov_b32 v3, v4 :: v_dual_mov_b32 v4, v5
	v_dual_mov_b32 v5, v6 :: v_dual_mov_b32 v6, v0
; %bb.19:                               ;   in Loop: Header=BB13_9 Depth=1
	s_or_b32 exec_lo, exec_lo, s21
	s_delay_alu instid0(SALU_CYCLE_1) | instskip(NEXT) | instid1(SALU_CYCLE_1)
	s_or_b32 exec_lo, exec_lo, s20
	s_mov_b32 s35, exec_lo
	v_cmpx_gt_i64_e64 s[16:17], v[10:11]
	s_cbranch_execz .LBB13_34
.LBB13_20:                              ;   in Loop: Header=BB13_9 Depth=1
	s_and_not1_b32 vcc_lo, exec_lo, s11
	s_cbranch_vccnz .LBB13_26
; %bb.21:                               ;   in Loop: Header=BB13_9 Depth=1
	v_mov_b32_e32 v7, 0
	s_and_not1_b32 vcc_lo, exec_lo, s27
	s_cbranch_vccnz .LBB13_30
; %bb.22:                               ;   in Loop: Header=BB13_9 Depth=1
	s_and_not1_b32 vcc_lo, exec_lo, s30
	s_mov_b32 s20, 0
	s_cbranch_vccnz .LBB13_27
; %bb.23:                               ;   in Loop: Header=BB13_9 Depth=1
	v_mov_b32_e32 v7, 0
	v_mov_b32_e32 v15, v10
	s_mov_b32 s36, 0
	s_mov_b64 s[20:21], s[18:19]
	s_mov_b64 s[22:23], s[0:1]
.LBB13_24:                              ;   Parent Loop BB13_9 Depth=1
                                        ; =>  This Inner Loop Header: Depth=2
	s_clause 0x1
	s_load_b256 s[40:47], s[20:21], 0x4
	s_load_b128 s[48:51], s[20:21], 0x24
	s_load_b128 s[52:55], s[22:23], 0x0
	s_add_u32 s20, s20, 48
	s_addc_u32 s21, s21, 0
	s_add_i32 s36, s36, 4
	s_add_u32 s22, s22, 16
	s_addc_u32 s23, s23, 0
	s_cmp_lg_u32 s31, s36
	s_waitcnt lgkmcnt(0)
	v_mul_hi_u32 v16, s41, v15
	s_delay_alu instid0(VALU_DEP_1) | instskip(NEXT) | instid1(VALU_DEP_1)
	v_add_nc_u32_e32 v16, v15, v16
	v_lshrrev_b32_e32 v16, s42, v16
	s_delay_alu instid0(VALU_DEP_1) | instskip(SKIP_1) | instid1(VALU_DEP_2)
	v_mul_hi_u32 v41, s44, v16
	v_mul_lo_u32 v44, v16, s40
	v_add_nc_u32_e32 v41, v16, v41
	s_delay_alu instid0(VALU_DEP_2) | instskip(NEXT) | instid1(VALU_DEP_2)
	v_sub_nc_u32_e32 v44, v15, v44
	v_lshrrev_b32_e32 v41, s45, v41
	s_delay_alu instid0(VALU_DEP_2) | instskip(NEXT) | instid1(VALU_DEP_2)
	v_mul_lo_u32 v44, v44, s52
	v_mul_hi_u32 v42, s47, v41
	v_mul_lo_u32 v45, v41, s43
	s_delay_alu instid0(VALU_DEP_2) | instskip(NEXT) | instid1(VALU_DEP_2)
	v_add_nc_u32_e32 v42, v41, v42
	v_sub_nc_u32_e32 v16, v16, v45
	s_delay_alu instid0(VALU_DEP_2) | instskip(NEXT) | instid1(VALU_DEP_2)
	v_lshrrev_b32_e32 v42, s48, v42
	v_mul_lo_u32 v16, v16, s53
	s_delay_alu instid0(VALU_DEP_2) | instskip(NEXT) | instid1(VALU_DEP_2)
	v_mul_hi_u32 v43, s50, v42
	v_add3_u32 v7, v44, v7, v16
	s_delay_alu instid0(VALU_DEP_2) | instskip(NEXT) | instid1(VALU_DEP_1)
	v_add_nc_u32_e32 v43, v42, v43
	v_lshrrev_b32_e32 v15, s51, v43
	v_mul_lo_u32 v43, v42, s46
	s_delay_alu instid0(VALU_DEP_2) | instskip(NEXT) | instid1(VALU_DEP_2)
	v_mul_lo_u32 v46, v15, s49
	v_sub_nc_u32_e32 v41, v41, v43
	s_delay_alu instid0(VALU_DEP_2) | instskip(NEXT) | instid1(VALU_DEP_2)
	v_sub_nc_u32_e32 v42, v42, v46
	v_mul_lo_u32 v41, v41, s54
	s_delay_alu instid0(VALU_DEP_2) | instskip(NEXT) | instid1(VALU_DEP_1)
	v_mul_lo_u32 v42, v42, s55
	v_add3_u32 v7, v41, v7, v42
	s_cbranch_scc1 .LBB13_24
; %bb.25:                               ;   in Loop: Header=BB13_9 Depth=1
	s_mov_b32 s20, s31
	s_and_not1_b32 vcc_lo, exec_lo, s34
	s_cbranch_vccz .LBB13_28
	s_branch .LBB13_30
.LBB13_26:                              ;   in Loop: Header=BB13_9 Depth=1
                                        ; implicit-def: $vgpr7
	s_branch .LBB13_31
.LBB13_27:                              ;   in Loop: Header=BB13_9 Depth=1
	v_mov_b32_e32 v15, v10
	s_and_not1_b32 vcc_lo, exec_lo, s34
	s_cbranch_vccnz .LBB13_30
.LBB13_28:                              ;   in Loop: Header=BB13_9 Depth=1
	s_lshl_b32 s21, s20, 2
	s_mul_i32 s22, s20, 12
	s_add_u32 s20, s0, s21
	s_addc_u32 s21, s1, 0
	s_add_u32 s22, s18, s22
	s_addc_u32 s23, s19, 0
	s_mov_b32 s36, s29
	.p2align	6
.LBB13_29:                              ;   Parent Loop BB13_9 Depth=1
                                        ; =>  This Inner Loop Header: Depth=2
	s_clause 0x1
	s_load_b64 s[38:39], s[22:23], 0x4
	s_load_b32 s37, s[22:23], 0xc
	s_add_u32 s22, s22, 12
	s_addc_u32 s23, s23, 0
	s_waitcnt lgkmcnt(0)
	v_mul_hi_u32 v16, s39, v15
	s_load_b32 s39, s[20:21], 0x0
	s_add_u32 s20, s20, 4
	s_addc_u32 s21, s21, 0
	s_add_i32 s36, s36, -1
	s_delay_alu instid0(SALU_CYCLE_1) | instskip(NEXT) | instid1(VALU_DEP_1)
	s_cmp_lg_u32 s36, 0
	v_add_nc_u32_e32 v16, v15, v16
	s_delay_alu instid0(VALU_DEP_1) | instskip(NEXT) | instid1(VALU_DEP_1)
	v_lshrrev_b32_e32 v16, s37, v16
	v_mul_lo_u32 v41, v16, s38
	s_delay_alu instid0(VALU_DEP_1) | instskip(SKIP_1) | instid1(VALU_DEP_1)
	v_sub_nc_u32_e32 v15, v15, v41
	s_waitcnt lgkmcnt(0)
	v_mad_u64_u32 v[41:42], null, v15, s39, v[7:8]
	v_mov_b32_e32 v15, v16
	s_delay_alu instid0(VALU_DEP_2)
	v_mov_b32_e32 v7, v41
	s_cbranch_scc1 .LBB13_29
.LBB13_30:                              ;   in Loop: Header=BB13_9 Depth=1
	s_cbranch_execnz .LBB13_33
.LBB13_31:                              ;   in Loop: Header=BB13_9 Depth=1
	v_mul_hi_u32 v7, v10, s6
	s_and_not1_b32 vcc_lo, exec_lo, s4
	s_delay_alu instid0(VALU_DEP_1) | instskip(NEXT) | instid1(VALU_DEP_1)
	v_add_nc_u32_e32 v7, v7, v10
	v_lshrrev_b32_e32 v15, s7, v7
	s_delay_alu instid0(VALU_DEP_1) | instskip(NEXT) | instid1(VALU_DEP_1)
	v_mul_lo_u32 v7, v15, s5
	v_sub_nc_u32_e32 v7, v10, v7
	s_delay_alu instid0(VALU_DEP_1)
	v_mul_lo_u32 v7, v7, s14
	s_cbranch_vccnz .LBB13_33
; %bb.32:                               ;   in Loop: Header=BB13_9 Depth=1
	v_mul_hi_u32 v16, s9, v15
	s_delay_alu instid0(VALU_DEP_1) | instskip(NEXT) | instid1(VALU_DEP_1)
	v_add_nc_u32_e32 v16, v15, v16
	v_lshrrev_b32_e32 v16, s10, v16
	s_delay_alu instid0(VALU_DEP_1) | instskip(NEXT) | instid1(VALU_DEP_1)
	v_mul_lo_u32 v16, v16, s8
	v_sub_nc_u32_e32 v41, v15, v16
	s_delay_alu instid0(VALU_DEP_1) | instskip(NEXT) | instid1(VALU_DEP_1)
	v_mad_u64_u32 v[15:16], null, v41, s15, v[7:8]
	v_mov_b32_e32 v7, v15
.LBB13_33:                              ;   in Loop: Header=BB13_9 Depth=1
	v_lshrrev_b32_e32 v4, 11, v4
	s_delay_alu instid0(VALU_DEP_1) | instskip(SKIP_1) | instid1(VALU_DEP_2)
	v_cvt_f64_u32_e32 v[15:16], v4
	v_cvt_f64_u32_e32 v[3:4], v3
	v_ldexp_f64 v[15:16], v[15:16], 32
	s_delay_alu instid0(VALU_DEP_1) | instskip(NEXT) | instid1(VALU_DEP_1)
	v_add_f64 v[3:4], v[15:16], v[3:4]
	v_fma_f64 v[3:4], 0x3ca00000, v[3:4], 0x3ca00000
	s_delay_alu instid0(VALU_DEP_1) | instskip(NEXT) | instid1(VALU_DEP_1)
	v_cvt_f32_f64_e32 v3, v[3:4]
	v_cmp_gt_f32_e32 vcc_lo, 0x800000, v3
	v_cndmask_b32_e64 v4, 1.0, 0x4f800000, vcc_lo
	s_delay_alu instid0(VALU_DEP_1) | instskip(NEXT) | instid1(VALU_DEP_1)
	v_mul_f32_e32 v3, v3, v4
	v_log_f32_e32 v3, v3
	s_waitcnt_depctr 0xfff
	v_mul_f32_e32 v4, 0x3f317217, v3
	s_delay_alu instid0(VALU_DEP_1) | instskip(NEXT) | instid1(VALU_DEP_1)
	v_fma_f32 v15, 0x3f317217, v3, -v4
	v_fmac_f32_e32 v15, 0x3377d1cf, v3
	s_delay_alu instid0(VALU_DEP_1) | instskip(SKIP_2) | instid1(VALU_DEP_3)
	v_add_f32_e32 v4, v4, v15
	v_cndmask_b32_e64 v15, 0, 0x41b17218, vcc_lo
	v_cmp_gt_f32_e64 vcc_lo, 0x7f800000, |v3|
	v_cndmask_b32_e32 v3, v3, v4, vcc_lo
	s_delay_alu instid0(VALU_DEP_1) | instskip(NEXT) | instid1(VALU_DEP_1)
	v_sub_f32_e32 v3, v3, v15
	v_div_scale_f32 v4, null, v33, v33, v3
	v_div_scale_f32 v41, vcc_lo, v3, v33, v3
	s_delay_alu instid0(VALU_DEP_2) | instskip(SKIP_2) | instid1(VALU_DEP_1)
	v_rcp_f32_e32 v15, v4
	s_waitcnt_depctr 0xfff
	v_fma_f32 v16, -v4, v15, 1.0
	v_fmac_f32_e32 v15, v16, v15
	s_delay_alu instid0(VALU_DEP_1) | instskip(NEXT) | instid1(VALU_DEP_1)
	v_mul_f32_e32 v16, v41, v15
	v_fma_f32 v42, -v4, v16, v41
	s_delay_alu instid0(VALU_DEP_1) | instskip(NEXT) | instid1(VALU_DEP_1)
	v_fmac_f32_e32 v16, v42, v15
	v_fma_f32 v4, -v4, v16, v41
	s_delay_alu instid0(VALU_DEP_1) | instskip(NEXT) | instid1(VALU_DEP_1)
	v_div_fmas_f32 v4, v4, v15, v16
	v_div_fixup_f32 v3, v4, v33, v3
	s_delay_alu instid0(VALU_DEP_1) | instskip(NEXT) | instid1(VALU_DEP_1)
	v_ceil_f32_e32 v3, v3
	v_mul_f32_e64 v4, 0x2f800000, |v3|
	v_ashrrev_i32_e32 v16, 31, v3
	s_delay_alu instid0(VALU_DEP_2) | instskip(NEXT) | instid1(VALU_DEP_1)
	v_floor_f32_e32 v4, v4
	v_fma_f32 v15, 0xcf800000, v4, |v3|
	v_cvt_u32_f32_e32 v4, v4
	s_delay_alu instid0(VALU_DEP_2) | instskip(NEXT) | instid1(VALU_DEP_2)
	v_cvt_u32_f32_e32 v3, v15
	v_xor_b32_e32 v4, v4, v16
	s_delay_alu instid0(VALU_DEP_2) | instskip(NEXT) | instid1(VALU_DEP_1)
	v_xor_b32_e32 v3, v3, v16
	v_sub_co_u32 v3, vcc_lo, v3, v16
	s_delay_alu instid0(VALU_DEP_3)
	v_sub_co_ci_u32_e32 v4, vcc_lo, v4, v16, vcc_lo
	global_store_b64 v7, v[3:4], s[12:13]
.LBB13_34:                              ;   in Loop: Header=BB13_9 Depth=1
	s_or_b32 exec_lo, exec_lo, s35
	v_add_co_u32 v15, vcc_lo, v10, s24
	v_add_co_ci_u32_e32 v16, vcc_lo, 0, v11, vcc_lo
	s_mov_b32 s35, exec_lo
	s_delay_alu instid0(VALU_DEP_1)
	v_cmpx_gt_i64_e64 s[16:17], v[15:16]
	s_cbranch_execz .LBB13_49
; %bb.35:                               ;   in Loop: Header=BB13_9 Depth=1
	s_and_not1_b32 vcc_lo, exec_lo, s11
	s_cbranch_vccnz .LBB13_41
; %bb.36:                               ;   in Loop: Header=BB13_9 Depth=1
	v_mov_b32_e32 v3, 0
	s_and_not1_b32 vcc_lo, exec_lo, s27
	s_cbranch_vccnz .LBB13_45
; %bb.37:                               ;   in Loop: Header=BB13_9 Depth=1
	s_and_not1_b32 vcc_lo, exec_lo, s30
	s_mov_b32 s20, 0
	s_cbranch_vccnz .LBB13_42
; %bb.38:                               ;   in Loop: Header=BB13_9 Depth=1
	v_dual_mov_b32 v3, 0 :: v_dual_mov_b32 v4, v15
	s_mov_b32 s36, 0
	s_mov_b64 s[20:21], s[18:19]
	s_mov_b64 s[22:23], s[0:1]
.LBB13_39:                              ;   Parent Loop BB13_9 Depth=1
                                        ; =>  This Inner Loop Header: Depth=2
	s_clause 0x1
	s_load_b256 s[40:47], s[20:21], 0x4
	s_load_b128 s[48:51], s[20:21], 0x24
	s_load_b128 s[52:55], s[22:23], 0x0
	s_add_u32 s20, s20, 48
	s_addc_u32 s21, s21, 0
	s_add_i32 s36, s36, 4
	s_add_u32 s22, s22, 16
	s_addc_u32 s23, s23, 0
	s_cmp_eq_u32 s31, s36
	s_waitcnt lgkmcnt(0)
	v_mul_hi_u32 v7, s41, v4
	s_delay_alu instid0(VALU_DEP_1) | instskip(NEXT) | instid1(VALU_DEP_1)
	v_add_nc_u32_e32 v7, v4, v7
	v_lshrrev_b32_e32 v7, s42, v7
	s_delay_alu instid0(VALU_DEP_1) | instskip(SKIP_1) | instid1(VALU_DEP_2)
	v_mul_hi_u32 v16, s44, v7
	v_mul_lo_u32 v43, v7, s40
	v_add_nc_u32_e32 v16, v7, v16
	s_delay_alu instid0(VALU_DEP_2) | instskip(NEXT) | instid1(VALU_DEP_2)
	v_sub_nc_u32_e32 v43, v4, v43
	v_lshrrev_b32_e32 v16, s45, v16
	s_delay_alu instid0(VALU_DEP_2) | instskip(NEXT) | instid1(VALU_DEP_2)
	v_mul_lo_u32 v43, v43, s52
	v_mul_hi_u32 v41, s47, v16
	v_mul_lo_u32 v44, v16, s43
	s_delay_alu instid0(VALU_DEP_2) | instskip(NEXT) | instid1(VALU_DEP_2)
	v_add_nc_u32_e32 v41, v16, v41
	v_sub_nc_u32_e32 v7, v7, v44
	s_delay_alu instid0(VALU_DEP_2) | instskip(NEXT) | instid1(VALU_DEP_2)
	v_lshrrev_b32_e32 v41, s48, v41
	v_mul_lo_u32 v7, v7, s53
	s_delay_alu instid0(VALU_DEP_2) | instskip(NEXT) | instid1(VALU_DEP_2)
	v_mul_hi_u32 v42, s50, v41
	v_add3_u32 v3, v43, v3, v7
	s_delay_alu instid0(VALU_DEP_2) | instskip(NEXT) | instid1(VALU_DEP_1)
	v_add_nc_u32_e32 v42, v41, v42
	v_lshrrev_b32_e32 v4, s51, v42
	v_mul_lo_u32 v42, v41, s46
	s_delay_alu instid0(VALU_DEP_2) | instskip(NEXT) | instid1(VALU_DEP_2)
	v_mul_lo_u32 v45, v4, s49
	v_sub_nc_u32_e32 v16, v16, v42
	s_delay_alu instid0(VALU_DEP_2) | instskip(NEXT) | instid1(VALU_DEP_2)
	v_sub_nc_u32_e32 v41, v41, v45
	v_mul_lo_u32 v16, v16, s54
	s_delay_alu instid0(VALU_DEP_2) | instskip(NEXT) | instid1(VALU_DEP_1)
	v_mul_lo_u32 v41, v41, s55
	v_add3_u32 v3, v16, v3, v41
	s_cbranch_scc0 .LBB13_39
; %bb.40:                               ;   in Loop: Header=BB13_9 Depth=1
	s_mov_b32 s20, s31
	s_and_not1_b32 vcc_lo, exec_lo, s34
	s_cbranch_vccz .LBB13_43
	s_branch .LBB13_45
.LBB13_41:                              ;   in Loop: Header=BB13_9 Depth=1
                                        ; implicit-def: $vgpr3
	s_branch .LBB13_46
.LBB13_42:                              ;   in Loop: Header=BB13_9 Depth=1
	v_mov_b32_e32 v4, v15
	s_and_not1_b32 vcc_lo, exec_lo, s34
	s_cbranch_vccnz .LBB13_45
.LBB13_43:                              ;   in Loop: Header=BB13_9 Depth=1
	s_lshl_b32 s21, s20, 2
	s_mul_i32 s22, s20, 12
	s_add_u32 s20, s0, s21
	s_addc_u32 s21, s1, 0
	s_add_u32 s22, s18, s22
	s_addc_u32 s23, s19, 0
	s_mov_b32 s36, s29
	.p2align	6
.LBB13_44:                              ;   Parent Loop BB13_9 Depth=1
                                        ; =>  This Inner Loop Header: Depth=2
	s_clause 0x1
	s_load_b64 s[38:39], s[22:23], 0x4
	s_load_b32 s37, s[22:23], 0xc
	s_add_u32 s22, s22, 12
	s_addc_u32 s23, s23, 0
	s_waitcnt lgkmcnt(0)
	v_mul_hi_u32 v7, s39, v4
	s_load_b32 s39, s[20:21], 0x0
	s_add_u32 s20, s20, 4
	s_addc_u32 s21, s21, 0
	s_add_i32 s36, s36, -1
	s_delay_alu instid0(SALU_CYCLE_1) | instskip(NEXT) | instid1(VALU_DEP_1)
	s_cmp_lg_u32 s36, 0
	v_add_nc_u32_e32 v7, v4, v7
	s_delay_alu instid0(VALU_DEP_1) | instskip(NEXT) | instid1(VALU_DEP_1)
	v_lshrrev_b32_e32 v7, s37, v7
	v_mul_lo_u32 v16, v7, s38
	s_delay_alu instid0(VALU_DEP_1) | instskip(SKIP_1) | instid1(VALU_DEP_1)
	v_sub_nc_u32_e32 v4, v4, v16
	s_waitcnt lgkmcnt(0)
	v_mad_u64_u32 v[41:42], null, v4, s39, v[3:4]
	s_delay_alu instid0(VALU_DEP_1)
	v_dual_mov_b32 v4, v7 :: v_dual_mov_b32 v3, v41
	s_cbranch_scc1 .LBB13_44
.LBB13_45:                              ;   in Loop: Header=BB13_9 Depth=1
	s_cbranch_execnz .LBB13_48
.LBB13_46:                              ;   in Loop: Header=BB13_9 Depth=1
	v_mul_hi_u32 v3, v15, s6
	s_and_not1_b32 vcc_lo, exec_lo, s4
	s_delay_alu instid0(VALU_DEP_1) | instskip(NEXT) | instid1(VALU_DEP_1)
	v_add_nc_u32_e32 v3, v3, v15
	v_lshrrev_b32_e32 v4, s7, v3
	s_delay_alu instid0(VALU_DEP_1) | instskip(NEXT) | instid1(VALU_DEP_1)
	v_mul_lo_u32 v3, v4, s5
	v_sub_nc_u32_e32 v3, v15, v3
	s_delay_alu instid0(VALU_DEP_1)
	v_mul_lo_u32 v3, v3, s14
	s_cbranch_vccnz .LBB13_48
; %bb.47:                               ;   in Loop: Header=BB13_9 Depth=1
	v_mul_hi_u32 v7, s9, v4
	s_delay_alu instid0(VALU_DEP_1) | instskip(NEXT) | instid1(VALU_DEP_1)
	v_add_nc_u32_e32 v7, v4, v7
	v_lshrrev_b32_e32 v7, s10, v7
	s_delay_alu instid0(VALU_DEP_1) | instskip(NEXT) | instid1(VALU_DEP_1)
	v_mul_lo_u32 v7, v7, s8
	v_sub_nc_u32_e32 v4, v4, v7
	s_delay_alu instid0(VALU_DEP_1) | instskip(NEXT) | instid1(VALU_DEP_1)
	v_mad_u64_u32 v[15:16], null, v4, s15, v[3:4]
	v_mov_b32_e32 v3, v15
.LBB13_48:                              ;   in Loop: Header=BB13_9 Depth=1
	v_lshrrev_b32_e32 v4, 11, v6
	s_delay_alu instid0(VALU_DEP_1) | instskip(SKIP_1) | instid1(VALU_DEP_2)
	v_cvt_f64_u32_e32 v[6:7], v4
	v_cvt_f64_u32_e32 v[4:5], v5
	v_ldexp_f64 v[6:7], v[6:7], 32
	s_delay_alu instid0(VALU_DEP_1) | instskip(NEXT) | instid1(VALU_DEP_1)
	v_add_f64 v[4:5], v[6:7], v[4:5]
	v_fma_f64 v[4:5], 0x3ca00000, v[4:5], 0x3ca00000
	s_delay_alu instid0(VALU_DEP_1) | instskip(NEXT) | instid1(VALU_DEP_1)
	v_cvt_f32_f64_e32 v4, v[4:5]
	v_cmp_gt_f32_e32 vcc_lo, 0x800000, v4
	v_cndmask_b32_e64 v5, 1.0, 0x4f800000, vcc_lo
	s_delay_alu instid0(VALU_DEP_1) | instskip(NEXT) | instid1(VALU_DEP_1)
	v_mul_f32_e32 v4, v4, v5
	v_log_f32_e32 v4, v4
	s_waitcnt_depctr 0xfff
	v_mul_f32_e32 v5, 0x3f317217, v4
	s_delay_alu instid0(VALU_DEP_1) | instskip(NEXT) | instid1(VALU_DEP_1)
	v_fma_f32 v6, 0x3f317217, v4, -v5
	v_fmac_f32_e32 v6, 0x3377d1cf, v4
	s_delay_alu instid0(VALU_DEP_1) | instskip(SKIP_2) | instid1(VALU_DEP_3)
	v_add_f32_e32 v5, v5, v6
	v_cndmask_b32_e64 v6, 0, 0x41b17218, vcc_lo
	v_cmp_gt_f32_e64 vcc_lo, 0x7f800000, |v4|
	v_cndmask_b32_e32 v4, v4, v5, vcc_lo
	s_delay_alu instid0(VALU_DEP_1) | instskip(NEXT) | instid1(VALU_DEP_1)
	v_sub_f32_e32 v4, v4, v6
	v_div_scale_f32 v5, null, v33, v33, v4
	v_div_scale_f32 v15, vcc_lo, v4, v33, v4
	s_delay_alu instid0(VALU_DEP_2) | instskip(SKIP_2) | instid1(VALU_DEP_1)
	v_rcp_f32_e32 v6, v5
	s_waitcnt_depctr 0xfff
	v_fma_f32 v7, -v5, v6, 1.0
	v_fmac_f32_e32 v6, v7, v6
	s_delay_alu instid0(VALU_DEP_1) | instskip(NEXT) | instid1(VALU_DEP_1)
	v_mul_f32_e32 v7, v15, v6
	v_fma_f32 v16, -v5, v7, v15
	s_delay_alu instid0(VALU_DEP_1) | instskip(NEXT) | instid1(VALU_DEP_1)
	v_fmac_f32_e32 v7, v16, v6
	v_fma_f32 v5, -v5, v7, v15
	s_delay_alu instid0(VALU_DEP_1) | instskip(NEXT) | instid1(VALU_DEP_1)
	v_div_fmas_f32 v5, v5, v6, v7
	v_div_fixup_f32 v4, v5, v33, v4
	s_delay_alu instid0(VALU_DEP_1) | instskip(NEXT) | instid1(VALU_DEP_1)
	v_ceil_f32_e32 v4, v4
	v_mul_f32_e64 v5, 0x2f800000, |v4|
	v_ashrrev_i32_e32 v7, 31, v4
	s_delay_alu instid0(VALU_DEP_2) | instskip(NEXT) | instid1(VALU_DEP_1)
	v_floor_f32_e32 v5, v5
	v_fma_f32 v6, 0xcf800000, v5, |v4|
	v_cvt_u32_f32_e32 v5, v5
	s_delay_alu instid0(VALU_DEP_2) | instskip(NEXT) | instid1(VALU_DEP_2)
	v_cvt_u32_f32_e32 v4, v6
	v_xor_b32_e32 v5, v5, v7
	s_delay_alu instid0(VALU_DEP_2) | instskip(NEXT) | instid1(VALU_DEP_1)
	v_xor_b32_e32 v4, v4, v7
	v_sub_co_u32 v4, vcc_lo, v4, v7
	s_delay_alu instid0(VALU_DEP_3)
	v_sub_co_ci_u32_e32 v5, vcc_lo, v5, v7, vcc_lo
	global_store_b64 v3, v[4:5], s[12:13]
.LBB13_49:                              ;   in Loop: Header=BB13_9 Depth=1
	s_or_b32 exec_lo, exec_lo, s35
	v_add_co_u32 v3, vcc_lo, v10, s28
	v_add_co_ci_u32_e32 v4, vcc_lo, 0, v11, vcc_lo
	s_mov_b32 s35, exec_lo
	s_delay_alu instid0(VALU_DEP_1)
	v_cmpx_gt_i64_e64 s[16:17], v[3:4]
	s_cbranch_execz .LBB13_64
; %bb.50:                               ;   in Loop: Header=BB13_9 Depth=1
	s_and_not1_b32 vcc_lo, exec_lo, s11
	s_cbranch_vccnz .LBB13_56
; %bb.51:                               ;   in Loop: Header=BB13_9 Depth=1
	v_mov_b32_e32 v4, 0
	s_and_not1_b32 vcc_lo, exec_lo, s27
	s_cbranch_vccnz .LBB13_60
; %bb.52:                               ;   in Loop: Header=BB13_9 Depth=1
	s_and_not1_b32 vcc_lo, exec_lo, s30
	s_mov_b32 s20, 0
	s_cbranch_vccnz .LBB13_57
; %bb.53:                               ;   in Loop: Header=BB13_9 Depth=1
	v_dual_mov_b32 v4, 0 :: v_dual_mov_b32 v5, v3
	s_mov_b32 s36, 0
	s_mov_b64 s[20:21], s[18:19]
	s_mov_b64 s[22:23], s[0:1]
.LBB13_54:                              ;   Parent Loop BB13_9 Depth=1
                                        ; =>  This Inner Loop Header: Depth=2
	s_clause 0x1
	s_load_b256 s[40:47], s[20:21], 0x4
	s_load_b128 s[48:51], s[20:21], 0x24
	s_load_b128 s[52:55], s[22:23], 0x0
	s_add_u32 s20, s20, 48
	s_addc_u32 s21, s21, 0
	s_add_i32 s36, s36, 4
	s_add_u32 s22, s22, 16
	s_addc_u32 s23, s23, 0
	s_cmp_eq_u32 s31, s36
	s_waitcnt lgkmcnt(0)
	v_mul_hi_u32 v6, s41, v5
	s_delay_alu instid0(VALU_DEP_1) | instskip(NEXT) | instid1(VALU_DEP_1)
	v_add_nc_u32_e32 v6, v5, v6
	v_lshrrev_b32_e32 v6, s42, v6
	s_delay_alu instid0(VALU_DEP_1) | instskip(SKIP_1) | instid1(VALU_DEP_2)
	v_mul_hi_u32 v7, s44, v6
	v_mul_lo_u32 v41, v6, s40
	v_add_nc_u32_e32 v7, v6, v7
	s_delay_alu instid0(VALU_DEP_2) | instskip(NEXT) | instid1(VALU_DEP_2)
	v_sub_nc_u32_e32 v41, v5, v41
	v_lshrrev_b32_e32 v7, s45, v7
	s_delay_alu instid0(VALU_DEP_2) | instskip(NEXT) | instid1(VALU_DEP_2)
	v_mul_lo_u32 v41, v41, s52
	v_mul_hi_u32 v15, s47, v7
	v_mul_lo_u32 v42, v7, s43
	s_delay_alu instid0(VALU_DEP_2) | instskip(NEXT) | instid1(VALU_DEP_2)
	v_add_nc_u32_e32 v15, v7, v15
	v_sub_nc_u32_e32 v6, v6, v42
	s_delay_alu instid0(VALU_DEP_2) | instskip(NEXT) | instid1(VALU_DEP_2)
	v_lshrrev_b32_e32 v15, s48, v15
	v_mul_lo_u32 v6, v6, s53
	s_delay_alu instid0(VALU_DEP_2) | instskip(NEXT) | instid1(VALU_DEP_2)
	v_mul_hi_u32 v16, s50, v15
	v_add3_u32 v4, v41, v4, v6
	s_delay_alu instid0(VALU_DEP_2) | instskip(NEXT) | instid1(VALU_DEP_1)
	v_add_nc_u32_e32 v16, v15, v16
	v_lshrrev_b32_e32 v5, s51, v16
	v_mul_lo_u32 v16, v15, s46
	s_delay_alu instid0(VALU_DEP_2) | instskip(NEXT) | instid1(VALU_DEP_2)
	v_mul_lo_u32 v43, v5, s49
	v_sub_nc_u32_e32 v7, v7, v16
	s_delay_alu instid0(VALU_DEP_2) | instskip(NEXT) | instid1(VALU_DEP_2)
	v_sub_nc_u32_e32 v15, v15, v43
	v_mul_lo_u32 v7, v7, s54
	s_delay_alu instid0(VALU_DEP_2) | instskip(NEXT) | instid1(VALU_DEP_1)
	v_mul_lo_u32 v15, v15, s55
	v_add3_u32 v4, v7, v4, v15
	s_cbranch_scc0 .LBB13_54
; %bb.55:                               ;   in Loop: Header=BB13_9 Depth=1
	s_mov_b32 s20, s31
	s_and_not1_b32 vcc_lo, exec_lo, s34
	s_cbranch_vccz .LBB13_58
	s_branch .LBB13_60
.LBB13_56:                              ;   in Loop: Header=BB13_9 Depth=1
                                        ; implicit-def: $vgpr4
	s_branch .LBB13_61
.LBB13_57:                              ;   in Loop: Header=BB13_9 Depth=1
	v_mov_b32_e32 v5, v3
	s_and_not1_b32 vcc_lo, exec_lo, s34
	s_cbranch_vccnz .LBB13_60
.LBB13_58:                              ;   in Loop: Header=BB13_9 Depth=1
	s_lshl_b32 s21, s20, 2
	s_mul_i32 s22, s20, 12
	s_add_u32 s20, s0, s21
	s_addc_u32 s21, s1, 0
	s_add_u32 s22, s18, s22
	s_addc_u32 s23, s19, 0
	s_mov_b32 s36, s29
	.p2align	6
.LBB13_59:                              ;   Parent Loop BB13_9 Depth=1
                                        ; =>  This Inner Loop Header: Depth=2
	s_clause 0x1
	s_load_b64 s[38:39], s[22:23], 0x4
	s_load_b32 s37, s[22:23], 0xc
	s_add_u32 s22, s22, 12
	s_addc_u32 s23, s23, 0
	s_waitcnt lgkmcnt(0)
	v_mul_hi_u32 v6, s39, v5
	s_load_b32 s39, s[20:21], 0x0
	s_add_u32 s20, s20, 4
	s_addc_u32 s21, s21, 0
	s_add_i32 s36, s36, -1
	s_delay_alu instid0(SALU_CYCLE_1) | instskip(NEXT) | instid1(VALU_DEP_1)
	s_cmp_lg_u32 s36, 0
	v_add_nc_u32_e32 v6, v5, v6
	s_delay_alu instid0(VALU_DEP_1) | instskip(NEXT) | instid1(VALU_DEP_1)
	v_lshrrev_b32_e32 v15, s37, v6
	v_mul_lo_u32 v6, v15, s38
	s_delay_alu instid0(VALU_DEP_1) | instskip(SKIP_1) | instid1(VALU_DEP_1)
	v_sub_nc_u32_e32 v5, v5, v6
	s_waitcnt lgkmcnt(0)
	v_mad_u64_u32 v[6:7], null, v5, s39, v[4:5]
	s_delay_alu instid0(VALU_DEP_1)
	v_dual_mov_b32 v5, v15 :: v_dual_mov_b32 v4, v6
	s_cbranch_scc1 .LBB13_59
.LBB13_60:                              ;   in Loop: Header=BB13_9 Depth=1
	s_cbranch_execnz .LBB13_63
.LBB13_61:                              ;   in Loop: Header=BB13_9 Depth=1
	v_mul_hi_u32 v4, v3, s6
	s_and_not1_b32 vcc_lo, exec_lo, s4
	s_delay_alu instid0(VALU_DEP_1) | instskip(NEXT) | instid1(VALU_DEP_1)
	v_add_nc_u32_e32 v4, v4, v3
	v_lshrrev_b32_e32 v5, s7, v4
	s_delay_alu instid0(VALU_DEP_1) | instskip(NEXT) | instid1(VALU_DEP_1)
	v_mul_lo_u32 v4, v5, s5
	v_sub_nc_u32_e32 v3, v3, v4
	s_delay_alu instid0(VALU_DEP_1)
	v_mul_lo_u32 v4, v3, s14
	s_cbranch_vccnz .LBB13_63
; %bb.62:                               ;   in Loop: Header=BB13_9 Depth=1
	v_mul_hi_u32 v3, s9, v5
	s_delay_alu instid0(VALU_DEP_1) | instskip(NEXT) | instid1(VALU_DEP_1)
	v_add_nc_u32_e32 v3, v5, v3
	v_lshrrev_b32_e32 v3, s10, v3
	s_delay_alu instid0(VALU_DEP_1) | instskip(NEXT) | instid1(VALU_DEP_1)
	v_mul_lo_u32 v3, v3, s8
	v_sub_nc_u32_e32 v3, v5, v3
	s_delay_alu instid0(VALU_DEP_1) | instskip(NEXT) | instid1(VALU_DEP_1)
	v_mad_u64_u32 v[5:6], null, v3, s15, v[4:5]
	v_mov_b32_e32 v4, v5
.LBB13_63:                              ;   in Loop: Header=BB13_9 Depth=1
	global_store_b64 v4, v[12:13], s[12:13]
.LBB13_64:                              ;   in Loop: Header=BB13_9 Depth=1
	s_or_b32 exec_lo, exec_lo, s35
	v_add_co_u32 v3, vcc_lo, v10, s33
	v_add_co_ci_u32_e32 v4, vcc_lo, 0, v11, vcc_lo
	s_mov_b32 s35, exec_lo
	s_delay_alu instid0(VALU_DEP_1)
	v_cmpx_gt_i64_e64 s[16:17], v[3:4]
	s_cbranch_execz .LBB13_8
; %bb.65:                               ;   in Loop: Header=BB13_9 Depth=1
	s_and_not1_b32 vcc_lo, exec_lo, s11
	s_cbranch_vccnz .LBB13_71
; %bb.66:                               ;   in Loop: Header=BB13_9 Depth=1
	v_mov_b32_e32 v4, 0
	s_and_not1_b32 vcc_lo, exec_lo, s27
	s_cbranch_vccnz .LBB13_75
; %bb.67:                               ;   in Loop: Header=BB13_9 Depth=1
	s_and_not1_b32 vcc_lo, exec_lo, s30
	s_mov_b32 s20, 0
	s_cbranch_vccnz .LBB13_72
; %bb.68:                               ;   in Loop: Header=BB13_9 Depth=1
	v_dual_mov_b32 v4, 0 :: v_dual_mov_b32 v5, v3
	s_mov_b32 s36, 0
	s_mov_b64 s[20:21], s[18:19]
	s_mov_b64 s[22:23], s[0:1]
.LBB13_69:                              ;   Parent Loop BB13_9 Depth=1
                                        ; =>  This Inner Loop Header: Depth=2
	s_clause 0x1
	s_load_b256 s[40:47], s[20:21], 0x4
	s_load_b128 s[48:51], s[20:21], 0x24
	s_load_b128 s[52:55], s[22:23], 0x0
	s_add_u32 s20, s20, 48
	s_addc_u32 s21, s21, 0
	s_add_i32 s36, s36, 4
	s_add_u32 s22, s22, 16
	s_addc_u32 s23, s23, 0
	s_cmp_eq_u32 s31, s36
	s_waitcnt lgkmcnt(0)
	v_mul_hi_u32 v6, s41, v5
	s_delay_alu instid0(VALU_DEP_1) | instskip(NEXT) | instid1(VALU_DEP_1)
	v_add_nc_u32_e32 v6, v5, v6
	v_lshrrev_b32_e32 v6, s42, v6
	s_delay_alu instid0(VALU_DEP_1) | instskip(SKIP_1) | instid1(VALU_DEP_2)
	v_mul_hi_u32 v7, s44, v6
	v_mul_lo_u32 v41, v6, s40
	v_add_nc_u32_e32 v7, v6, v7
	s_delay_alu instid0(VALU_DEP_2) | instskip(NEXT) | instid1(VALU_DEP_2)
	v_sub_nc_u32_e32 v41, v5, v41
	v_lshrrev_b32_e32 v7, s45, v7
	s_delay_alu instid0(VALU_DEP_2) | instskip(NEXT) | instid1(VALU_DEP_2)
	v_mul_lo_u32 v41, v41, s52
	v_mul_hi_u32 v15, s47, v7
	v_mul_lo_u32 v42, v7, s43
	s_delay_alu instid0(VALU_DEP_2) | instskip(NEXT) | instid1(VALU_DEP_2)
	v_add_nc_u32_e32 v15, v7, v15
	v_sub_nc_u32_e32 v6, v6, v42
	s_delay_alu instid0(VALU_DEP_2) | instskip(NEXT) | instid1(VALU_DEP_2)
	v_lshrrev_b32_e32 v15, s48, v15
	v_mul_lo_u32 v6, v6, s53
	s_delay_alu instid0(VALU_DEP_2) | instskip(NEXT) | instid1(VALU_DEP_2)
	v_mul_hi_u32 v16, s50, v15
	v_add3_u32 v4, v41, v4, v6
	s_delay_alu instid0(VALU_DEP_2) | instskip(NEXT) | instid1(VALU_DEP_1)
	v_add_nc_u32_e32 v16, v15, v16
	v_lshrrev_b32_e32 v5, s51, v16
	v_mul_lo_u32 v16, v15, s46
	s_delay_alu instid0(VALU_DEP_2) | instskip(NEXT) | instid1(VALU_DEP_2)
	v_mul_lo_u32 v43, v5, s49
	v_sub_nc_u32_e32 v7, v7, v16
	s_delay_alu instid0(VALU_DEP_2) | instskip(NEXT) | instid1(VALU_DEP_2)
	v_sub_nc_u32_e32 v15, v15, v43
	v_mul_lo_u32 v7, v7, s54
	s_delay_alu instid0(VALU_DEP_2) | instskip(NEXT) | instid1(VALU_DEP_1)
	v_mul_lo_u32 v15, v15, s55
	v_add3_u32 v4, v7, v4, v15
	s_cbranch_scc0 .LBB13_69
; %bb.70:                               ;   in Loop: Header=BB13_9 Depth=1
	s_mov_b32 s20, s31
	s_and_not1_b32 vcc_lo, exec_lo, s34
	s_cbranch_vccz .LBB13_73
	s_branch .LBB13_75
.LBB13_71:                              ;   in Loop: Header=BB13_9 Depth=1
                                        ; implicit-def: $vgpr4
	s_branch .LBB13_76
.LBB13_72:                              ;   in Loop: Header=BB13_9 Depth=1
	v_mov_b32_e32 v5, v3
	s_and_not1_b32 vcc_lo, exec_lo, s34
	s_cbranch_vccnz .LBB13_75
.LBB13_73:                              ;   in Loop: Header=BB13_9 Depth=1
	s_lshl_b32 s21, s20, 2
	s_mul_i32 s22, s20, 12
	s_add_u32 s20, s0, s21
	s_addc_u32 s21, s1, 0
	s_add_u32 s22, s18, s22
	s_addc_u32 s23, s19, 0
	s_mov_b32 s36, s29
	.p2align	6
.LBB13_74:                              ;   Parent Loop BB13_9 Depth=1
                                        ; =>  This Inner Loop Header: Depth=2
	s_clause 0x1
	s_load_b64 s[38:39], s[22:23], 0x4
	s_load_b32 s37, s[22:23], 0xc
	s_add_u32 s22, s22, 12
	s_addc_u32 s23, s23, 0
	s_waitcnt lgkmcnt(0)
	v_mul_hi_u32 v6, s39, v5
	s_load_b32 s39, s[20:21], 0x0
	s_add_u32 s20, s20, 4
	s_addc_u32 s21, s21, 0
	s_add_i32 s36, s36, -1
	s_delay_alu instid0(SALU_CYCLE_1) | instskip(NEXT) | instid1(VALU_DEP_1)
	s_cmp_lg_u32 s36, 0
	v_add_nc_u32_e32 v6, v5, v6
	s_delay_alu instid0(VALU_DEP_1) | instskip(NEXT) | instid1(VALU_DEP_1)
	v_lshrrev_b32_e32 v15, s37, v6
	v_mul_lo_u32 v6, v15, s38
	s_delay_alu instid0(VALU_DEP_1) | instskip(SKIP_1) | instid1(VALU_DEP_1)
	v_sub_nc_u32_e32 v5, v5, v6
	s_waitcnt lgkmcnt(0)
	v_mad_u64_u32 v[6:7], null, v5, s39, v[4:5]
	s_delay_alu instid0(VALU_DEP_1)
	v_dual_mov_b32 v5, v15 :: v_dual_mov_b32 v4, v6
	s_cbranch_scc1 .LBB13_74
.LBB13_75:                              ;   in Loop: Header=BB13_9 Depth=1
	s_cbranch_execnz .LBB13_7
.LBB13_76:                              ;   in Loop: Header=BB13_9 Depth=1
	v_mul_hi_u32 v4, v3, s6
	s_and_not1_b32 vcc_lo, exec_lo, s4
	s_delay_alu instid0(VALU_DEP_1) | instskip(NEXT) | instid1(VALU_DEP_1)
	v_add_nc_u32_e32 v4, v4, v3
	v_lshrrev_b32_e32 v5, s7, v4
	s_delay_alu instid0(VALU_DEP_1) | instskip(NEXT) | instid1(VALU_DEP_1)
	v_mul_lo_u32 v4, v5, s5
	v_sub_nc_u32_e32 v3, v3, v4
	s_delay_alu instid0(VALU_DEP_1)
	v_mul_lo_u32 v4, v3, s14
	s_cbranch_vccnz .LBB13_7
; %bb.77:                               ;   in Loop: Header=BB13_9 Depth=1
	v_mul_hi_u32 v3, s9, v5
	s_delay_alu instid0(VALU_DEP_1) | instskip(NEXT) | instid1(VALU_DEP_1)
	v_add_nc_u32_e32 v3, v5, v3
	v_lshrrev_b32_e32 v3, s10, v3
	s_delay_alu instid0(VALU_DEP_1) | instskip(NEXT) | instid1(VALU_DEP_1)
	v_mul_lo_u32 v3, v3, s8
	v_sub_nc_u32_e32 v3, v5, v3
	s_delay_alu instid0(VALU_DEP_1) | instskip(NEXT) | instid1(VALU_DEP_1)
	v_mad_u64_u32 v[5:6], null, v3, s15, v[4:5]
	v_mov_b32_e32 v4, v5
	s_branch .LBB13_7
.LBB13_78:
	s_endpgm
.LBB13_79:
                                        ; implicit-def: $sgpr2_sgpr3
	s_branch .LBB13_4
	.section	.rodata,"a",@progbits
	.p2align	6, 0x0
	.amdhsa_kernel _ZN2at6native12_GLOBAL__N_143distribution_elementwise_grid_stride_kernelIfLi4EZNS0_9templates4cuda21uniform_and_transformIlfPNS_17CUDAGeneratorImplEZZZNS4_16geometric_kernelIS7_EEvRNS_18TensorIteratorBaseEdT_ENKUlvE_clEvENKUlvE2_clEvEUlfE_EEvSA_T1_T2_EUlP25hiprandStatePhilox4_32_10E_ZNS1_27distribution_nullary_kernelIlf15HIP_vector_typeIdLj2EES7_SJ_SE_EEvSA_SG_RKT3_T4_EUlifE0_EEvlNS_15PhiloxCudaStateESF_SG_
		.amdhsa_group_segment_fixed_size 0
		.amdhsa_private_segment_fixed_size 0
		.amdhsa_kernarg_size 584
		.amdhsa_user_sgpr_count 15
		.amdhsa_user_sgpr_dispatch_ptr 0
		.amdhsa_user_sgpr_queue_ptr 0
		.amdhsa_user_sgpr_kernarg_segment_ptr 1
		.amdhsa_user_sgpr_dispatch_id 0
		.amdhsa_user_sgpr_private_segment_size 0
		.amdhsa_wavefront_size32 1
		.amdhsa_uses_dynamic_stack 0
		.amdhsa_enable_private_segment 0
		.amdhsa_system_sgpr_workgroup_id_x 1
		.amdhsa_system_sgpr_workgroup_id_y 0
		.amdhsa_system_sgpr_workgroup_id_z 0
		.amdhsa_system_sgpr_workgroup_info 0
		.amdhsa_system_vgpr_workitem_id 0
		.amdhsa_next_free_vgpr 47
		.amdhsa_next_free_sgpr 56
		.amdhsa_reserve_vcc 1
		.amdhsa_float_round_mode_32 0
		.amdhsa_float_round_mode_16_64 0
		.amdhsa_float_denorm_mode_32 3
		.amdhsa_float_denorm_mode_16_64 3
		.amdhsa_dx10_clamp 1
		.amdhsa_ieee_mode 1
		.amdhsa_fp16_overflow 0
		.amdhsa_workgroup_processor_mode 1
		.amdhsa_memory_ordered 1
		.amdhsa_forward_progress 0
		.amdhsa_shared_vgpr_count 0
		.amdhsa_exception_fp_ieee_invalid_op 0
		.amdhsa_exception_fp_denorm_src 0
		.amdhsa_exception_fp_ieee_div_zero 0
		.amdhsa_exception_fp_ieee_overflow 0
		.amdhsa_exception_fp_ieee_underflow 0
		.amdhsa_exception_fp_ieee_inexact 0
		.amdhsa_exception_int_div_zero 0
	.end_amdhsa_kernel
	.section	.text._ZN2at6native12_GLOBAL__N_143distribution_elementwise_grid_stride_kernelIfLi4EZNS0_9templates4cuda21uniform_and_transformIlfPNS_17CUDAGeneratorImplEZZZNS4_16geometric_kernelIS7_EEvRNS_18TensorIteratorBaseEdT_ENKUlvE_clEvENKUlvE2_clEvEUlfE_EEvSA_T1_T2_EUlP25hiprandStatePhilox4_32_10E_ZNS1_27distribution_nullary_kernelIlf15HIP_vector_typeIdLj2EES7_SJ_SE_EEvSA_SG_RKT3_T4_EUlifE0_EEvlNS_15PhiloxCudaStateESF_SG_,"axG",@progbits,_ZN2at6native12_GLOBAL__N_143distribution_elementwise_grid_stride_kernelIfLi4EZNS0_9templates4cuda21uniform_and_transformIlfPNS_17CUDAGeneratorImplEZZZNS4_16geometric_kernelIS7_EEvRNS_18TensorIteratorBaseEdT_ENKUlvE_clEvENKUlvE2_clEvEUlfE_EEvSA_T1_T2_EUlP25hiprandStatePhilox4_32_10E_ZNS1_27distribution_nullary_kernelIlf15HIP_vector_typeIdLj2EES7_SJ_SE_EEvSA_SG_RKT3_T4_EUlifE0_EEvlNS_15PhiloxCudaStateESF_SG_,comdat
.Lfunc_end13:
	.size	_ZN2at6native12_GLOBAL__N_143distribution_elementwise_grid_stride_kernelIfLi4EZNS0_9templates4cuda21uniform_and_transformIlfPNS_17CUDAGeneratorImplEZZZNS4_16geometric_kernelIS7_EEvRNS_18TensorIteratorBaseEdT_ENKUlvE_clEvENKUlvE2_clEvEUlfE_EEvSA_T1_T2_EUlP25hiprandStatePhilox4_32_10E_ZNS1_27distribution_nullary_kernelIlf15HIP_vector_typeIdLj2EES7_SJ_SE_EEvSA_SG_RKT3_T4_EUlifE0_EEvlNS_15PhiloxCudaStateESF_SG_, .Lfunc_end13-_ZN2at6native12_GLOBAL__N_143distribution_elementwise_grid_stride_kernelIfLi4EZNS0_9templates4cuda21uniform_and_transformIlfPNS_17CUDAGeneratorImplEZZZNS4_16geometric_kernelIS7_EEvRNS_18TensorIteratorBaseEdT_ENKUlvE_clEvENKUlvE2_clEvEUlfE_EEvSA_T1_T2_EUlP25hiprandStatePhilox4_32_10E_ZNS1_27distribution_nullary_kernelIlf15HIP_vector_typeIdLj2EES7_SJ_SE_EEvSA_SG_RKT3_T4_EUlifE0_EEvlNS_15PhiloxCudaStateESF_SG_
                                        ; -- End function
	.section	.AMDGPU.csdata,"",@progbits
; Kernel info:
; codeLenInByte = 6736
; NumSgprs: 58
; NumVgprs: 47
; ScratchSize: 0
; MemoryBound: 0
; FloatMode: 240
; IeeeMode: 1
; LDSByteSize: 0 bytes/workgroup (compile time only)
; SGPRBlocks: 7
; VGPRBlocks: 5
; NumSGPRsForWavesPerEU: 58
; NumVGPRsForWavesPerEU: 47
; Occupancy: 16
; WaveLimiterHint : 1
; COMPUTE_PGM_RSRC2:SCRATCH_EN: 0
; COMPUTE_PGM_RSRC2:USER_SGPR: 15
; COMPUTE_PGM_RSRC2:TRAP_HANDLER: 0
; COMPUTE_PGM_RSRC2:TGID_X_EN: 1
; COMPUTE_PGM_RSRC2:TGID_Y_EN: 0
; COMPUTE_PGM_RSRC2:TGID_Z_EN: 0
; COMPUTE_PGM_RSRC2:TIDIG_COMP_CNT: 0
	.section	.text._ZN2at6native12_GLOBAL__N_143distribution_elementwise_grid_stride_kernelIfLi4EZNS0_9templates4cuda21uniform_and_transformIlfPNS_17CUDAGeneratorImplEZZZNS4_16geometric_kernelIS7_EEvRNS_18TensorIteratorBaseEdT_ENKUlvE_clEvENKUlvE2_clEvEUlfE_EEvSA_T1_T2_EUlP25hiprandStatePhilox4_32_10E0_ZNS1_27distribution_nullary_kernelIlf15HIP_vector_typeIfLj4EES7_SJ_SE_EEvSA_SG_RKT3_T4_EUlifE_EEvlNS_15PhiloxCudaStateESF_SG_,"axG",@progbits,_ZN2at6native12_GLOBAL__N_143distribution_elementwise_grid_stride_kernelIfLi4EZNS0_9templates4cuda21uniform_and_transformIlfPNS_17CUDAGeneratorImplEZZZNS4_16geometric_kernelIS7_EEvRNS_18TensorIteratorBaseEdT_ENKUlvE_clEvENKUlvE2_clEvEUlfE_EEvSA_T1_T2_EUlP25hiprandStatePhilox4_32_10E0_ZNS1_27distribution_nullary_kernelIlf15HIP_vector_typeIfLj4EES7_SJ_SE_EEvSA_SG_RKT3_T4_EUlifE_EEvlNS_15PhiloxCudaStateESF_SG_,comdat
	.globl	_ZN2at6native12_GLOBAL__N_143distribution_elementwise_grid_stride_kernelIfLi4EZNS0_9templates4cuda21uniform_and_transformIlfPNS_17CUDAGeneratorImplEZZZNS4_16geometric_kernelIS7_EEvRNS_18TensorIteratorBaseEdT_ENKUlvE_clEvENKUlvE2_clEvEUlfE_EEvSA_T1_T2_EUlP25hiprandStatePhilox4_32_10E0_ZNS1_27distribution_nullary_kernelIlf15HIP_vector_typeIfLj4EES7_SJ_SE_EEvSA_SG_RKT3_T4_EUlifE_EEvlNS_15PhiloxCudaStateESF_SG_ ; -- Begin function _ZN2at6native12_GLOBAL__N_143distribution_elementwise_grid_stride_kernelIfLi4EZNS0_9templates4cuda21uniform_and_transformIlfPNS_17CUDAGeneratorImplEZZZNS4_16geometric_kernelIS7_EEvRNS_18TensorIteratorBaseEdT_ENKUlvE_clEvENKUlvE2_clEvEUlfE_EEvSA_T1_T2_EUlP25hiprandStatePhilox4_32_10E0_ZNS1_27distribution_nullary_kernelIlf15HIP_vector_typeIfLj4EES7_SJ_SE_EEvSA_SG_RKT3_T4_EUlifE_EEvlNS_15PhiloxCudaStateESF_SG_
	.p2align	8
	.type	_ZN2at6native12_GLOBAL__N_143distribution_elementwise_grid_stride_kernelIfLi4EZNS0_9templates4cuda21uniform_and_transformIlfPNS_17CUDAGeneratorImplEZZZNS4_16geometric_kernelIS7_EEvRNS_18TensorIteratorBaseEdT_ENKUlvE_clEvENKUlvE2_clEvEUlfE_EEvSA_T1_T2_EUlP25hiprandStatePhilox4_32_10E0_ZNS1_27distribution_nullary_kernelIlf15HIP_vector_typeIfLj4EES7_SJ_SE_EEvSA_SG_RKT3_T4_EUlifE_EEvlNS_15PhiloxCudaStateESF_SG_,@function
_ZN2at6native12_GLOBAL__N_143distribution_elementwise_grid_stride_kernelIfLi4EZNS0_9templates4cuda21uniform_and_transformIlfPNS_17CUDAGeneratorImplEZZZNS4_16geometric_kernelIS7_EEvRNS_18TensorIteratorBaseEdT_ENKUlvE_clEvENKUlvE2_clEvEUlfE_EEvSA_T1_T2_EUlP25hiprandStatePhilox4_32_10E0_ZNS1_27distribution_nullary_kernelIlf15HIP_vector_typeIfLj4EES7_SJ_SE_EEvSA_SG_RKT3_T4_EUlifE_EEvlNS_15PhiloxCudaStateESF_SG_: ; @_ZN2at6native12_GLOBAL__N_143distribution_elementwise_grid_stride_kernelIfLi4EZNS0_9templates4cuda21uniform_and_transformIlfPNS_17CUDAGeneratorImplEZZZNS4_16geometric_kernelIS7_EEvRNS_18TensorIteratorBaseEdT_ENKUlvE_clEvENKUlvE2_clEvEUlfE_EEvSA_T1_T2_EUlP25hiprandStatePhilox4_32_10E0_ZNS1_27distribution_nullary_kernelIlf15HIP_vector_typeIfLj4EES7_SJ_SE_EEvSA_SG_RKT3_T4_EUlifE_EEvlNS_15PhiloxCudaStateESF_SG_
; %bb.0:
	s_clause 0x2
	s_load_b64 s[8:9], s[0:1], 0x10
	s_load_b128 s[4:7], s[0:1], 0x0
	s_load_b32 s2, s[0:1], 0x20
	s_waitcnt lgkmcnt(0)
	v_dual_mov_b32 v2, s8 :: v_dual_mov_b32 v3, s9
	v_dual_mov_b32 v12, s7 :: v_dual_mov_b32 v11, s6
	s_bitcmp0_b32 s2, 0
	s_mov_b32 s2, 0
	s_cbranch_scc1 .LBB14_2
; %bb.1:
	v_dual_mov_b32 v1, s8 :: v_dual_mov_b32 v2, s9
	v_dual_mov_b32 v4, s6 :: v_dual_mov_b32 v5, s7
	s_load_b64 s[6:7], s[0:1], 0x18
	flat_load_b64 v[2:3], v[1:2]
	flat_load_b64 v[11:12], v[4:5]
	s_waitcnt vmcnt(1) lgkmcnt(0)
	v_add_co_u32 v2, vcc_lo, v2, s6
	v_add_co_ci_u32_e32 v3, vcc_lo, s7, v3, vcc_lo
.LBB14_2:
	s_clause 0x1
	s_load_b32 s3, s[0:1], 0x54
	s_load_b32 s11, s[0:1], 0x48
	s_waitcnt lgkmcnt(0)
	s_and_b32 s10, s3, 0xffff
	s_add_u32 s6, s4, -1
	s_mul_i32 s8, s11, s10
	s_addc_u32 s3, s5, -1
	s_lshl_b32 s9, s8, 2
	s_cmp_lg_u64 s[2:3], 0
	s_cbranch_scc0 .LBB14_27
; %bb.3:
	v_cvt_f32_ubyte0_e32 v1, 0
	v_cvt_f32_u32_e32 v4, s9
	s_sub_u32 s12, 0, s9
	s_subb_u32 s13, 0, 0
	s_delay_alu instid0(VALU_DEP_1) | instskip(NEXT) | instid1(VALU_DEP_1)
	v_fmamk_f32 v1, v1, 0x4f800000, v4
	v_rcp_f32_e32 v1, v1
	s_waitcnt_depctr 0xfff
	v_mul_f32_e32 v1, 0x5f7ffffc, v1
	s_delay_alu instid0(VALU_DEP_1) | instskip(NEXT) | instid1(VALU_DEP_1)
	v_mul_f32_e32 v4, 0x2f800000, v1
	v_trunc_f32_e32 v4, v4
	s_delay_alu instid0(VALU_DEP_1) | instskip(SKIP_1) | instid1(VALU_DEP_2)
	v_fmamk_f32 v1, v4, 0xcf800000, v1
	v_cvt_u32_f32_e32 v4, v4
	v_cvt_u32_f32_e32 v1, v1
	s_delay_alu instid0(VALU_DEP_2) | instskip(NEXT) | instid1(VALU_DEP_2)
	v_readfirstlane_b32 s2, v4
	v_readfirstlane_b32 s7, v1
	s_delay_alu instid0(VALU_DEP_2) | instskip(NEXT) | instid1(VALU_DEP_1)
	s_mul_i32 s14, s12, s2
	s_mul_hi_u32 s17, s12, s7
	s_mul_i32 s16, s13, s7
	s_add_i32 s14, s17, s14
	s_mul_i32 s18, s12, s7
	s_add_i32 s14, s14, s16
	s_mul_hi_u32 s17, s7, s18
	s_mul_hi_u32 s19, s2, s18
	s_mul_i32 s16, s2, s18
	s_mul_hi_u32 s18, s7, s14
	s_mul_i32 s7, s7, s14
	s_mul_hi_u32 s20, s2, s14
	s_add_u32 s7, s17, s7
	s_addc_u32 s17, 0, s18
	s_add_u32 s7, s7, s16
	s_mul_i32 s14, s2, s14
	s_addc_u32 s7, s17, s19
	s_addc_u32 s16, s20, 0
	s_add_u32 s7, s7, s14
	s_addc_u32 s14, 0, s16
	v_add_co_u32 v1, s7, v1, s7
	s_delay_alu instid0(VALU_DEP_1) | instskip(SKIP_1) | instid1(VALU_DEP_1)
	s_cmp_lg_u32 s7, 0
	s_addc_u32 s2, s2, s14
	v_readfirstlane_b32 s7, v1
	s_mul_i32 s14, s12, s2
	s_delay_alu instid0(VALU_DEP_1)
	s_mul_hi_u32 s16, s12, s7
	s_mul_i32 s13, s13, s7
	s_add_i32 s14, s16, s14
	s_mul_i32 s12, s12, s7
	s_add_i32 s14, s14, s13
	s_mul_hi_u32 s16, s2, s12
	s_mul_i32 s17, s2, s12
	s_mul_hi_u32 s12, s7, s12
	s_mul_hi_u32 s18, s7, s14
	s_mul_i32 s7, s7, s14
	s_mul_hi_u32 s13, s2, s14
	s_add_u32 s7, s12, s7
	s_addc_u32 s12, 0, s18
	s_add_u32 s7, s7, s17
	s_mul_i32 s14, s2, s14
	s_addc_u32 s7, s12, s16
	s_addc_u32 s12, s13, 0
	s_add_u32 s7, s7, s14
	s_addc_u32 s12, 0, s12
	v_add_co_u32 v1, s7, v1, s7
	s_delay_alu instid0(VALU_DEP_1) | instskip(SKIP_2) | instid1(VALU_DEP_1)
	s_cmp_lg_u32 s7, 0
	s_addc_u32 s7, s2, s12
	s_ashr_i32 s12, s3, 31
	v_readfirstlane_b32 s14, v1
	s_add_u32 s2, s6, s12
	s_mov_b32 s13, s12
	s_addc_u32 s3, s3, s12
	s_delay_alu instid0(SALU_CYCLE_1) | instskip(NEXT) | instid1(SALU_CYCLE_1)
	s_xor_b64 s[2:3], s[2:3], s[12:13]
	s_mul_i32 s17, s2, s7
	s_mul_hi_u32 s18, s2, s14
	s_mul_hi_u32 s16, s2, s7
	;; [unrolled: 1-line block ×3, first 2 shown]
	s_mul_i32 s14, s3, s14
	s_add_u32 s17, s18, s17
	s_addc_u32 s16, 0, s16
	s_mul_hi_u32 s19, s3, s7
	s_add_u32 s14, s17, s14
	s_mul_i32 s7, s3, s7
	s_addc_u32 s14, s16, s20
	s_addc_u32 s16, s19, 0
	s_add_u32 s7, s14, s7
	s_addc_u32 s14, 0, s16
	s_mul_i32 s17, s9, s7
	s_add_u32 s16, s7, 1
	v_sub_co_u32 v1, s2, s2, s17
	s_mul_hi_u32 s17, s9, s7
	s_addc_u32 s18, s14, 0
	s_mul_i32 s19, s9, s14
	s_delay_alu instid0(VALU_DEP_1)
	v_sub_co_u32 v4, s20, v1, s9
	s_add_u32 s21, s7, 2
	s_addc_u32 s22, s14, 0
	s_add_i32 s17, s17, s19
	s_cmp_lg_u32 s2, 0
	v_readfirstlane_b32 s2, v4
	s_subb_u32 s3, s3, s17
	s_cmp_lg_u32 s20, 0
	s_subb_u32 s17, s3, 0
	s_delay_alu instid0(VALU_DEP_1) | instskip(SKIP_4) | instid1(SALU_CYCLE_1)
	s_cmp_ge_u32 s2, s9
	s_cselect_b32 s2, -1, 0
	s_cmp_eq_u32 s17, 0
	v_readfirstlane_b32 s17, v1
	s_cselect_b32 s2, s2, -1
	s_cmp_lg_u32 s2, 0
	s_cselect_b32 s2, s21, s16
	s_cselect_b32 s16, s22, s18
	s_cmp_ge_u32 s17, s9
	s_cselect_b32 s17, -1, 0
	s_cmp_eq_u32 s3, 0
	s_cselect_b32 s3, s17, -1
	s_delay_alu instid0(SALU_CYCLE_1) | instskip(SKIP_2) | instid1(SALU_CYCLE_1)
	s_cmp_lg_u32 s3, 0
	s_cselect_b32 s3, s16, s14
	s_cselect_b32 s2, s2, s7
	s_xor_b64 s[2:3], s[2:3], s[12:13]
	s_delay_alu instid0(SALU_CYCLE_1)
	s_sub_u32 s2, s2, s12
	s_subb_u32 s3, s3, s12
	s_cbranch_execnz .LBB14_5
.LBB14_4:
	v_cvt_f32_u32_e32 v1, s9
	s_sub_i32 s3, 0, s9
	s_delay_alu instid0(VALU_DEP_1) | instskip(SKIP_2) | instid1(VALU_DEP_1)
	v_rcp_iflag_f32_e32 v1, v1
	s_waitcnt_depctr 0xfff
	v_mul_f32_e32 v1, 0x4f7ffffe, v1
	v_cvt_u32_f32_e32 v1, v1
	s_delay_alu instid0(VALU_DEP_1) | instskip(NEXT) | instid1(VALU_DEP_1)
	v_readfirstlane_b32 s2, v1
	s_mul_i32 s3, s3, s2
	s_delay_alu instid0(SALU_CYCLE_1) | instskip(NEXT) | instid1(SALU_CYCLE_1)
	s_mul_hi_u32 s3, s2, s3
	s_add_i32 s2, s2, s3
	s_delay_alu instid0(SALU_CYCLE_1) | instskip(NEXT) | instid1(SALU_CYCLE_1)
	s_mul_hi_u32 s2, s6, s2
	s_mul_i32 s3, s2, s9
	s_delay_alu instid0(SALU_CYCLE_1)
	s_sub_i32 s3, s6, s3
	s_add_i32 s6, s2, 1
	s_sub_i32 s7, s3, s9
	s_cmp_ge_u32 s3, s9
	s_cselect_b32 s2, s6, s2
	s_cselect_b32 s3, s7, s3
	s_add_i32 s6, s2, 1
	s_cmp_ge_u32 s3, s9
	s_mov_b32 s3, 0
	s_cselect_b32 s2, s6, s2
.LBB14_5:
	v_mov_b32_e32 v1, 0
	s_add_u32 s2, s2, 1
	s_addc_u32 s3, s3, 0
	s_mul_hi_u32 s6, s8, s2
	s_mul_i32 s3, s8, s3
	v_mad_u64_u32 v[13:14], null, s10, s15, v[0:1]
	s_mul_hi_u32 s7, s11, s10
	s_add_i32 s3, s6, s3
	s_mul_i32 s7, s7, s2
	s_mul_i32 s2, s8, s2
	s_add_i32 s3, s3, s7
	s_mov_b32 s6, exec_lo
	s_lshl_b64 s[2:3], s[2:3], 2
	s_delay_alu instid0(SALU_CYCLE_1)
	v_cmpx_gt_i64_e64 s[2:3], v[13:14]
	s_cbranch_execz .LBB14_26
; %bb.6:
	s_load_b64 s[6:7], s[0:1], 0x40
	v_alignbit_b32 v24, v3, v2, 2
	v_lshrrev_b32_e32 v25, 2, v3
	s_mov_b32 s13, 0x3e9b6dac
	s_waitcnt vmcnt(0)
	v_add_co_u32 v23, null, 0x9e3779b9, v11
	v_add_co_u32 v22, null, 0xdaa66d2b, v11
	;; [unrolled: 1-line block ×4, first 2 shown]
	s_mul_i32 s14, s11, 3
	v_add_co_u32 v28, null, 0xb54cda56, v11
	s_add_i32 s14, s15, s14
	v_add_co_u32 v20, null, 0x5384540f, v11
	s_lshl_b32 s16, s11, 1
	v_add_nc_u32_e32 v18, 0x8ff34781, v11
	s_waitcnt lgkmcnt(0)
	v_cvt_f32_f64_e32 v43, s[6:7]
	s_clause 0x1
	s_load_b64 s[6:7], s[0:1], 0x30
	s_load_b32 s12, s[0:1], 0x38
	s_mov_b32 s0, 0
	s_lshl_b32 s1, s8, 1
	v_add_nc_u32_e32 v19, 0x96a522ad, v12
	s_delay_alu instid0(VALU_DEP_2) | instskip(NEXT) | instid1(VALU_DEP_1)
	v_sub_f32_e32 v1, 1.0, v43
	v_cvt_f64_f32_e32 v[4:5], v1
	s_delay_alu instid0(VALU_DEP_1) | instskip(SKIP_1) | instid1(VALU_DEP_1)
	v_frexp_exp_i32_f64_e32 v4, v[4:5]
	v_frexp_mant_f32_e32 v5, v1
	v_cmp_gt_f32_e32 vcc_lo, 0x3f2aaaab, v5
	s_delay_alu instid0(VALU_DEP_3) | instskip(SKIP_2) | instid1(VALU_DEP_3)
	v_subrev_co_ci_u32_e32 v10, vcc_lo, 0, v4, vcc_lo
	v_add_f32_e32 v4, -1.0, v1
	v_cmp_eq_f32_e32 vcc_lo, 0xff800000, v43
	v_sub_nc_u32_e32 v5, 0, v10
	v_cvt_f32_i32_e32 v10, v10
	s_delay_alu instid0(VALU_DEP_4) | instskip(SKIP_1) | instid1(VALU_DEP_3)
	v_sub_f32_e32 v6, v4, v1
	v_sub_f32_e64 v4, -v43, v4
	v_mul_f32_e32 v37, 0x3f317218, v10
	s_delay_alu instid0(VALU_DEP_3) | instskip(SKIP_1) | instid1(VALU_DEP_1)
	v_add_f32_e32 v6, 1.0, v6
	v_ldexp_f32 v1, v1, v5
	v_dual_add_f32 v4, v4, v6 :: v_dual_add_f32 v7, 1.0, v1
	s_delay_alu instid0(VALU_DEP_1) | instskip(NEXT) | instid1(VALU_DEP_2)
	v_ldexp_f32 v4, v4, v5
	v_dual_add_f32 v6, -1.0, v7 :: v_dual_add_f32 v5, -1.0, v1
	s_delay_alu instid0(VALU_DEP_1) | instskip(NEXT) | instid1(VALU_DEP_2)
	v_sub_f32_e32 v6, v1, v6
	v_add_f32_e32 v8, 1.0, v5
	s_delay_alu instid0(VALU_DEP_1) | instskip(NEXT) | instid1(VALU_DEP_1)
	v_sub_f32_e32 v1, v1, v8
	v_add_f32_e32 v1, v4, v1
	s_delay_alu instid0(VALU_DEP_4) | instskip(NEXT) | instid1(VALU_DEP_2)
	v_add_f32_e32 v6, v4, v6
	v_add_f32_e32 v4, v5, v1
	s_delay_alu instid0(VALU_DEP_1) | instskip(NEXT) | instid1(VALU_DEP_1)
	v_sub_f32_e32 v5, v4, v5
	v_dual_sub_f32 v1, v1, v5 :: v_dual_add_f32 v8, v7, v6
	s_delay_alu instid0(VALU_DEP_1) | instskip(SKIP_3) | instid1(VALU_DEP_2)
	v_rcp_f32_e32 v9, v8
	s_waitcnt_depctr 0xfff
	v_mul_f32_e32 v15, v4, v9
	v_sub_f32_e32 v7, v8, v7
	v_mul_f32_e32 v16, v8, v15
	s_delay_alu instid0(VALU_DEP_2) | instskip(NEXT) | instid1(VALU_DEP_2)
	v_sub_f32_e32 v6, v6, v7
	v_fma_f32 v7, v15, v8, -v16
	s_delay_alu instid0(VALU_DEP_1) | instskip(NEXT) | instid1(VALU_DEP_1)
	v_fmac_f32_e32 v7, v15, v6
	v_add_f32_e32 v17, v16, v7
	s_delay_alu instid0(VALU_DEP_1) | instskip(NEXT) | instid1(VALU_DEP_1)
	v_sub_f32_e32 v26, v4, v17
	v_sub_f32_e32 v4, v4, v26
	s_delay_alu instid0(VALU_DEP_1) | instskip(NEXT) | instid1(VALU_DEP_1)
	v_sub_f32_e32 v4, v4, v17
	v_add_f32_e32 v1, v1, v4
	v_sub_f32_e32 v5, v17, v16
	v_and_b32_e32 v17, 3, v2
	s_delay_alu instid0(VALU_DEP_2) | instskip(NEXT) | instid1(VALU_DEP_1)
	v_sub_f32_e32 v5, v5, v7
	v_add_f32_e32 v4, v5, v1
	v_mad_u64_u32 v[1:2], null, 0xcd9e8d57, v13, 0
	s_delay_alu instid0(VALU_DEP_2) | instskip(NEXT) | instid1(VALU_DEP_2)
	v_add_f32_e32 v5, v26, v4
	v_xor3_b32 v2, v11, v2, v25
	s_delay_alu instid0(VALU_DEP_2) | instskip(NEXT) | instid1(VALU_DEP_1)
	v_mul_f32_e32 v7, v9, v5
	v_mul_f32_e32 v16, v8, v7
	v_dual_mov_b32 v38, v12 :: v_dual_sub_f32 v3, v26, v5
	v_add_co_u32 v26, null, 0x3c6ef372, v11
	s_delay_alu instid0(VALU_DEP_3) | instskip(NEXT) | instid1(VALU_DEP_3)
	v_fma_f32 v8, v7, v8, -v16
	v_add_co_u32 v31, null, 0x76cf5d0a, v38
	s_delay_alu instid0(VALU_DEP_4) | instskip(SKIP_1) | instid1(VALU_DEP_4)
	v_add_f32_e32 v29, v4, v3
	v_mad_u64_u32 v[3:4], null, 0xd2511f53, v24, 0
	v_fmac_f32_e32 v8, v7, v6
	v_add_co_u32 v32, null, 0x32370b8f, v38
	v_add_co_u32 v35, null, 0xa9066899, v38
	s_delay_alu instid0(VALU_DEP_3) | instskip(NEXT) | instid1(VALU_DEP_1)
	v_add_f32_e32 v6, v16, v8
	v_sub_f32_e32 v30, v5, v6
	s_delay_alu instid0(VALU_DEP_1) | instskip(NEXT) | instid1(VALU_DEP_1)
	v_dual_sub_f32 v5, v5, v30 :: v_dual_sub_f32 v16, v6, v16
	v_dual_sub_f32 v5, v5, v6 :: v_dual_sub_f32 v6, v16, v8
	v_add_f32_e32 v16, v15, v7
	v_xor_b32_e32 v8, v4, v12
	s_delay_alu instid0(VALU_DEP_3) | instskip(SKIP_1) | instid1(VALU_DEP_3)
	v_add_f32_e32 v5, v29, v5
	v_add_co_u32 v29, null, 0xf1bbcdc8, v11
	v_xor_b32_e32 v8, v8, v14
	s_delay_alu instid0(VALU_DEP_3) | instskip(SKIP_2) | instid1(VALU_DEP_1)
	v_add_f32_e32 v6, v6, v5
	v_mad_u64_u32 v[4:5], null, 0xd2511f53, v2, 0
	v_sub_f32_e32 v2, v16, v15
	v_sub_f32_e32 v7, v7, v2
	s_delay_alu instid0(VALU_DEP_4) | instskip(SKIP_1) | instid1(VALU_DEP_2)
	v_add_f32_e32 v6, v30, v6
	v_add_co_u32 v30, null, 0xbb67ae85, v38
	v_mul_f32_e32 v6, v9, v6
	s_delay_alu instid0(VALU_DEP_2) | instskip(SKIP_1) | instid1(VALU_DEP_3)
	v_xor3_b32 v9, v30, v5, v3
	v_mad_u64_u32 v[2:3], null, 0xcd9e8d57, v8, 0
	v_add_f32_e32 v15, v7, v6
	s_delay_alu instid0(VALU_DEP_3) | instskip(SKIP_1) | instid1(VALU_DEP_3)
	v_mad_u64_u32 v[5:6], null, 0xcd9e8d57, v9, 0
	v_mad_u64_u32 v[7:8], null, s15, s10, v[0:1]
	v_add_f32_e32 v33, v16, v15
	v_xor3_b32 v3, v23, v3, v1
	s_delay_alu instid0(VALU_DEP_4) | instskip(NEXT) | instid1(VALU_DEP_3)
	v_xor3_b32 v6, v26, v6, v2
	v_mul_f32_e32 v34, v33, v33
	s_delay_alu instid0(VALU_DEP_3) | instskip(NEXT) | instid1(VALU_DEP_3)
	v_mad_u64_u32 v[1:2], null, 0xd2511f53, v3, 0
	v_mad_u64_u32 v[8:9], null, 0xd2511f53, v6, 0
	s_delay_alu instid0(VALU_DEP_3)
	v_fmaak_f32 v3, s13, v34, 0x3ecc95a3
	v_mul_f32_e32 v6, v33, v34
	v_sub_f32_e32 v16, v33, v16
	v_xor3_b32 v4, v31, v2, v4
	s_add_i32 s13, s15, s11
	v_fmaak_f32 v3, v34, v3, 0x3f2aaada
	v_ldexp_f32 v34, v33, 1
	v_xor3_b32 v9, v32, v9, v1
	v_mad_u64_u32 v[1:2], null, 0xcd9e8d57, v4, 0
	s_delay_alu instid0(VALU_DEP_4) | instskip(NEXT) | instid1(VALU_DEP_3)
	v_dual_mul_f32 v6, v6, v3 :: v_dual_mov_b32 v33, v13
	v_mad_u64_u32 v[3:4], null, 0xcd9e8d57, v9, 0
	s_delay_alu instid0(VALU_DEP_2) | instskip(SKIP_3) | instid1(VALU_DEP_3)
	v_dual_sub_f32 v9, v15, v16 :: v_dual_add_f32 v36, v34, v6
	v_fma_f32 v16, 0x3f317218, v10, -v37
	v_xor3_b32 v5, v22, v2, v5
	s_add_i32 s15, s15, s16
	v_ldexp_f32 v9, v9, 1
	s_delay_alu instid0(VALU_DEP_3) | instskip(SKIP_3) | instid1(VALU_DEP_2)
	v_dual_sub_f32 v15, v36, v34 :: v_dual_fmamk_f32 v16, v10, 0xb102e308, v16
	v_add_co_u32 v34, null, 0xed9eba14, v38
	s_waitcnt lgkmcnt(0)
	s_mul_i32 s11, s11, s12
	v_dual_sub_f32 v6, v6, v15 :: v_dual_add_f32 v39, v37, v16
	v_xor3_b32 v15, v27, v4, v1
	v_mad_u64_u32 v[1:2], null, 0xd2511f53, v5, 0
	s_delay_alu instid0(VALU_DEP_3) | instskip(NEXT) | instid1(VALU_DEP_3)
	v_dual_add_f32 v6, v9, v6 :: v_dual_sub_f32 v37, v39, v37
	v_mad_u64_u32 v[4:5], null, 0xd2511f53, v15, 0
	s_mul_i32 s11, s11, s10
	s_delay_alu instid0(VALU_DEP_2) | instskip(NEXT) | instid1(VALU_DEP_4)
	v_add_f32_e32 v40, v36, v6
	v_xor3_b32 v2, v34, v2, v8
	v_mad_u64_u32 v[8:9], null, s13, s10, v[0:1]
	s_lshl_b32 s11, s11, 2
	s_delay_alu instid0(VALU_DEP_3) | instskip(SKIP_2) | instid1(VALU_DEP_3)
	v_add_f32_e32 v41, v39, v40
	v_xor3_b32 v5, v35, v5, v1
	v_mad_u64_u32 v[9:10], null, 0xcd9e8d57, v2, 0
	v_sub_f32_e32 v15, v41, v39
	s_delay_alu instid0(VALU_DEP_3) | instskip(NEXT) | instid1(VALU_DEP_2)
	v_mad_u64_u32 v[1:2], null, 0xcd9e8d57, v5, 0
	v_dual_sub_f32 v42, v16, v37 :: v_dual_sub_f32 v5, v41, v15
	s_delay_alu instid0(VALU_DEP_4) | instskip(SKIP_1) | instid1(VALU_DEP_4)
	v_xor3_b32 v3, v21, v10, v3
	v_sub_f32_e32 v10, v40, v15
	v_xor3_b32 v9, v28, v2, v9
	s_delay_alu instid0(VALU_DEP_4) | instskip(NEXT) | instid1(VALU_DEP_1)
	v_dual_sub_f32 v15, v39, v5 :: v_dual_sub_f32 v36, v40, v36
	v_sub_f32_e32 v44, v6, v36
	v_mad_u64_u32 v[5:6], null, 0xd2511f53, v3, 0
	v_add_co_u32 v36, null, 0x646e171e, v38
	s_delay_alu instid0(VALU_DEP_3) | instskip(SKIP_2) | instid1(VALU_DEP_4)
	v_add_f32_e32 v37, v42, v44
	v_add_f32_e32 v3, v10, v15
	v_mad_u64_u32 v[15:16], null, s14, s10, v[0:1]
	v_xor3_b32 v4, v36, v6, v4
	s_delay_alu instid0(VALU_DEP_3) | instskip(SKIP_1) | instid1(VALU_DEP_3)
	v_add_f32_e32 v16, v37, v3
	v_mad_u64_u32 v[2:3], null, 0xd2511f53, v9, 0
	v_mad_u64_u32 v[9:10], null, 0xcd9e8d57, v4, 0
	s_delay_alu instid0(VALU_DEP_3) | instskip(NEXT) | instid1(VALU_DEP_1)
	v_add_f32_e32 v40, v41, v16
	v_dual_sub_f32 v6, v37, v42 :: v_dual_sub_f32 v39, v40, v41
	s_delay_alu instid0(VALU_DEP_1) | instskip(SKIP_2) | instid1(VALU_DEP_4)
	v_sub_f32_e32 v4, v37, v6
	v_add_co_u32 v37, null, 0x1fd5c5a3, v38
	v_sub_f32_e32 v6, v44, v6
	v_sub_f32_e32 v16, v16, v39
	s_delay_alu instid0(VALU_DEP_4) | instskip(NEXT) | instid1(VALU_DEP_4)
	v_sub_f32_e32 v4, v42, v4
	v_xor3_b32 v3, v37, v3, v5
	v_xor3_b32 v10, v20, v10, v1
	v_mad_u64_u32 v[41:42], null, s15, s10, v[0:1]
	s_delay_alu instid0(VALU_DEP_4) | instskip(NEXT) | instid1(VALU_DEP_4)
	v_add_f32_e32 v6, v6, v4
	v_mad_u64_u32 v[0:1], null, 0xcd9e8d57, v3, 0
	s_delay_alu instid0(VALU_DEP_4) | instskip(NEXT) | instid1(VALU_DEP_3)
	v_mad_u64_u32 v[4:5], null, 0xd2511f53, v10, 0
	v_add_f32_e32 v3, v6, v16
	v_add_co_u32 v38, null, 0xdb3d7428, v38
	v_mul_lo_u32 v39, s12, v7
	v_xor3_b32 v1, v29, v1, v9
	s_delay_alu instid0(VALU_DEP_4) | instskip(NEXT) | instid1(VALU_DEP_4)
	v_add_f32_e32 v3, v40, v3
	v_xor3_b32 v7, v38, v5, v2
	v_cmp_gt_f32_e64 s10, 0x33800000, |v43|
	v_mul_lo_u32 v40, s12, v15
	v_mad_u64_u32 v[5:6], null, 0xd2511f53, v1, 0
	v_cndmask_b32_e64 v3, v3, -v43, vcc_lo
	v_cmp_nlt_f32_e32 vcc_lo, 1.0, v43
	v_mad_u64_u32 v[1:2], null, 0xcd9e8d57, v7, 0
	v_mul_lo_u32 v41, s12, v41
	v_mul_lo_u32 v42, s12, v8
	v_cndmask_b32_e32 v3, 0x7fc00000, v3, vcc_lo
	v_cmp_neq_f32_e32 vcc_lo, 1.0, v43
	v_mov_b32_e32 v44, v14
	s_mov_b32 s12, 0
	v_xor3_b32 v0, v2, v0, v18
	v_xor3_b32 v2, v6, v4, v19
	v_cndmask_b32_e32 v7, 0xff800000, v3, vcc_lo
	v_mov_b32_e32 v3, v5
	s_delay_alu instid0(VALU_DEP_2)
	v_cndmask_b32_e64 v43, v7, -v43, s10
	s_mul_i32 s10, s8, 3
	s_branch .LBB14_8
.LBB14_7:                               ;   in Loop: Header=BB14_8 Depth=1
	s_or_b32 exec_lo, exec_lo, s13
	v_add_co_u32 v13, vcc_lo, v13, s9
	v_add_co_ci_u32_e32 v14, vcc_lo, 0, v14, vcc_lo
	v_mov_b32_e32 v7, v15
	v_dual_mov_b32 v0, v4 :: v_dual_mov_b32 v1, v5
	s_delay_alu instid0(VALU_DEP_3) | instskip(NEXT) | instid1(VALU_DEP_3)
	v_cmp_le_i64_e32 vcc_lo, s[2:3], v[13:14]
	v_dual_mov_b32 v2, v6 :: v_dual_mov_b32 v3, v7
	s_add_i32 s12, s12, s11
	s_waitcnt_vscnt null, 0x0
	s_barrier
	s_or_b32 s0, vcc_lo, s0
	buffer_gl0_inv
	s_and_not1_b32 exec_lo, exec_lo, s0
	s_cbranch_execz .LBB14_26
.LBB14_8:                               ; =>This Inner Loop Header: Depth=1
	v_add_co_u32 v24, vcc_lo, v24, 1
	s_delay_alu instid0(VALU_DEP_1) | instskip(SKIP_2) | instid1(VALU_DEP_1)
	v_cndmask_b32_e64 v4, 0, 1, vcc_lo
	v_add_co_ci_u32_e32 v25, vcc_lo, 0, v25, vcc_lo
	s_mov_b32 s13, exec_lo
	v_cmp_eq_u32_e32 vcc_lo, 0, v25
	s_delay_alu instid0(VALU_DEP_3) | instskip(NEXT) | instid1(VALU_DEP_1)
	v_cndmask_b32_e32 v4, 0, v4, vcc_lo
	v_add_nc_u32_e32 v33, v4, v33
	s_delay_alu instid0(VALU_DEP_1) | instskip(SKIP_2) | instid1(VALU_DEP_2)
	v_cmp_eq_u32_e32 vcc_lo, 0, v33
	v_cndmask_b32_e32 v4, 0, v4, vcc_lo
	v_mad_u64_u32 v[6:7], null, 0xcd9e8d57, v33, 0
	v_add_nc_u32_e32 v44, v4, v44
	v_mad_u64_u32 v[4:5], null, 0xd2511f53, v24, 0
	s_delay_alu instid0(VALU_DEP_3) | instskip(NEXT) | instid1(VALU_DEP_2)
	v_xor3_b32 v9, v7, v11, v25
	v_xor_b32_e32 v5, v5, v12
	s_delay_alu instid0(VALU_DEP_2) | instskip(NEXT) | instid1(VALU_DEP_2)
	v_mad_u64_u32 v[7:8], null, 0xd2511f53, v9, 0
	v_xor_b32_e32 v5, v44, v5
	s_delay_alu instid0(VALU_DEP_2) | instskip(NEXT) | instid1(VALU_DEP_2)
	v_xor3_b32 v8, v30, v8, v4
	v_mad_u64_u32 v[9:10], null, 0xcd9e8d57, v5, 0
	s_delay_alu instid0(VALU_DEP_2) | instskip(NEXT) | instid1(VALU_DEP_2)
	v_mad_u64_u32 v[4:5], null, 0xcd9e8d57, v8, 0
	v_xor3_b32 v6, v23, v10, v6
	s_delay_alu instid0(VALU_DEP_2) | instskip(NEXT) | instid1(VALU_DEP_2)
	v_xor3_b32 v8, v26, v5, v9
	v_mad_u64_u32 v[15:16], null, 0xd2511f53, v6, 0
	s_delay_alu instid0(VALU_DEP_2) | instskip(NEXT) | instid1(VALU_DEP_2)
	v_mad_u64_u32 v[5:6], null, 0xd2511f53, v8, 0
	v_xor3_b32 v9, v31, v16, v7
	s_delay_alu instid0(VALU_DEP_2) | instskip(NEXT) | instid1(VALU_DEP_2)
	v_xor3_b32 v6, v32, v6, v15
	v_mad_u64_u32 v[7:8], null, 0xcd9e8d57, v9, 0
	s_delay_alu instid0(VALU_DEP_1) | instskip(NEXT) | instid1(VALU_DEP_3)
	v_xor3_b32 v4, v22, v8, v4
	v_mad_u64_u32 v[8:9], null, 0xcd9e8d57, v6, 0
	s_delay_alu instid0(VALU_DEP_2) | instskip(NEXT) | instid1(VALU_DEP_2)
	v_mad_u64_u32 v[15:16], null, 0xd2511f53, v4, 0
	v_xor3_b32 v6, v27, v9, v7
	s_delay_alu instid0(VALU_DEP_2) | instskip(NEXT) | instid1(VALU_DEP_2)
	v_xor3_b32 v9, v34, v16, v5
	v_mad_u64_u32 v[4:5], null, 0xd2511f53, v6, 0
	s_delay_alu instid0(VALU_DEP_2) | instskip(NEXT) | instid1(VALU_DEP_2)
	v_mad_u64_u32 v[6:7], null, 0xcd9e8d57, v9, 0
	v_xor3_b32 v5, v35, v5, v15
	s_delay_alu instid0(VALU_DEP_2) | instskip(NEXT) | instid1(VALU_DEP_2)
	v_xor3_b32 v15, v21, v7, v8
	v_mad_u64_u32 v[7:8], null, 0xcd9e8d57, v5, 0
	s_delay_alu instid0(VALU_DEP_2) | instskip(NEXT) | instid1(VALU_DEP_2)
	v_mad_u64_u32 v[9:10], null, 0xd2511f53, v15, 0
	v_xor3_b32 v6, v28, v8, v6
	s_delay_alu instid0(VALU_DEP_2) | instskip(NEXT) | instid1(VALU_DEP_2)
	v_xor3_b32 v8, v36, v10, v4
	v_mad_u64_u32 v[4:5], null, 0xd2511f53, v6, 0
	s_delay_alu instid0(VALU_DEP_2) | instskip(NEXT) | instid1(VALU_DEP_2)
	v_mad_u64_u32 v[15:16], null, 0xcd9e8d57, v8, 0
	v_xor3_b32 v5, v37, v5, v9
	s_delay_alu instid0(VALU_DEP_2) | instskip(NEXT) | instid1(VALU_DEP_2)
	v_xor3_b32 v6, v20, v16, v7
	v_mad_u64_u32 v[7:8], null, 0xcd9e8d57, v5, 0
	s_delay_alu instid0(VALU_DEP_2) | instskip(NEXT) | instid1(VALU_DEP_2)
	v_mad_u64_u32 v[9:10], null, 0xd2511f53, v6, 0
	v_xor3_b32 v5, v29, v8, v15
	s_delay_alu instid0(VALU_DEP_2) | instskip(NEXT) | instid1(VALU_DEP_2)
	v_xor3_b32 v4, v38, v10, v4
	v_mad_u64_u32 v[15:16], null, 0xd2511f53, v5, 0
	s_delay_alu instid0(VALU_DEP_2) | instskip(NEXT) | instid1(VALU_DEP_2)
	v_mad_u64_u32 v[5:6], null, 0xcd9e8d57, v4, 0
	v_xor3_b32 v10, v16, v9, v19
	s_delay_alu instid0(VALU_DEP_2) | instskip(NEXT) | instid1(VALU_DEP_2)
	v_xor3_b32 v4, v6, v7, v18
	v_mov_b32_e32 v6, v10
	v_cmpx_lt_i32_e32 1, v17
	s_xor_b32 s13, exec_lo, s13
	s_cbranch_execnz .LBB14_18
; %bb.9:                                ;   in Loop: Header=BB14_8 Depth=1
	s_and_not1_saveexec_b32 s13, s13
	s_cbranch_execnz .LBB14_23
.LBB14_10:                              ;   in Loop: Header=BB14_8 Depth=1
	s_or_b32 exec_lo, exec_lo, s13
	s_delay_alu instid0(SALU_CYCLE_1)
	s_mov_b32 s13, exec_lo
	v_cmpx_gt_i64_e64 s[4:5], v[13:14]
	s_cbranch_execz .LBB14_12
.LBB14_11:                              ;   in Loop: Header=BB14_8 Depth=1
	v_cvt_f32_u32_e32 v0, v0
	s_delay_alu instid0(VALU_DEP_1) | instskip(NEXT) | instid1(VALU_DEP_1)
	v_fmaak_f32 v0, 0x2f800000, v0, 0x2f800000
	v_cmp_gt_f32_e32 vcc_lo, 0x800000, v0
	v_cndmask_b32_e64 v7, 1.0, 0x4f800000, vcc_lo
	s_delay_alu instid0(VALU_DEP_1) | instskip(NEXT) | instid1(VALU_DEP_1)
	v_mul_f32_e32 v0, v0, v7
	v_log_f32_e32 v0, v0
	s_waitcnt_depctr 0xfff
	v_mul_f32_e32 v7, 0x3f317217, v0
	s_delay_alu instid0(VALU_DEP_1) | instskip(NEXT) | instid1(VALU_DEP_1)
	v_fma_f32 v8, 0x3f317217, v0, -v7
	v_fmac_f32_e32 v8, 0x3377d1cf, v0
	s_delay_alu instid0(VALU_DEP_1) | instskip(SKIP_2) | instid1(VALU_DEP_3)
	v_add_f32_e32 v7, v7, v8
	v_cndmask_b32_e64 v8, 0, 0x41b17218, vcc_lo
	v_cmp_gt_f32_e64 vcc_lo, 0x7f800000, |v0|
	v_cndmask_b32_e32 v0, v0, v7, vcc_lo
	s_delay_alu instid0(VALU_DEP_1) | instskip(NEXT) | instid1(VALU_DEP_1)
	v_sub_f32_e32 v0, v0, v8
	v_div_scale_f32 v7, null, v43, v43, v0
	v_div_scale_f32 v10, vcc_lo, v0, v43, v0
	s_delay_alu instid0(VALU_DEP_2) | instskip(SKIP_2) | instid1(VALU_DEP_1)
	v_rcp_f32_e32 v8, v7
	s_waitcnt_depctr 0xfff
	v_fma_f32 v9, -v7, v8, 1.0
	v_fmac_f32_e32 v8, v9, v8
	s_delay_alu instid0(VALU_DEP_1) | instskip(NEXT) | instid1(VALU_DEP_1)
	v_mul_f32_e32 v9, v10, v8
	v_fma_f32 v16, -v7, v9, v10
	s_delay_alu instid0(VALU_DEP_1) | instskip(NEXT) | instid1(VALU_DEP_1)
	v_fmac_f32_e32 v9, v16, v8
	v_fma_f32 v7, -v7, v9, v10
	s_delay_alu instid0(VALU_DEP_1) | instskip(SKIP_1) | instid1(VALU_DEP_2)
	v_div_fmas_f32 v7, v7, v8, v9
	v_add_nc_u32_e32 v9, s12, v39
	v_div_fixup_f32 v0, v7, v43, v0
	s_delay_alu instid0(VALU_DEP_2) | instskip(NEXT) | instid1(VALU_DEP_2)
	v_ashrrev_i32_e32 v10, 31, v9
	v_ceil_f32_e32 v0, v0
	s_delay_alu instid0(VALU_DEP_1) | instskip(NEXT) | instid1(VALU_DEP_1)
	v_mul_f32_e64 v7, 0x2f800000, |v0|
	v_floor_f32_e32 v7, v7
	s_delay_alu instid0(VALU_DEP_1) | instskip(SKIP_2) | instid1(VALU_DEP_3)
	v_fma_f32 v8, 0xcf800000, v7, |v0|
	v_ashrrev_i32_e32 v0, 31, v0
	v_cvt_u32_f32_e32 v7, v7
	v_cvt_u32_f32_e32 v8, v8
	s_delay_alu instid0(VALU_DEP_2) | instskip(SKIP_1) | instid1(VALU_DEP_3)
	v_xor_b32_e32 v16, v7, v0
	v_add_co_u32 v7, vcc_lo, s6, v9
	v_xor_b32_e32 v45, v8, v0
	v_add_co_ci_u32_e32 v8, vcc_lo, s7, v10, vcc_lo
	s_delay_alu instid0(VALU_DEP_2)
	v_sub_co_u32 v9, vcc_lo, v45, v0
	v_sub_co_ci_u32_e32 v10, vcc_lo, v16, v0, vcc_lo
	global_store_b64 v[7:8], v[9:10], off
.LBB14_12:                              ;   in Loop: Header=BB14_8 Depth=1
	s_or_b32 exec_lo, exec_lo, s13
	v_add_co_u32 v7, vcc_lo, s8, v13
	v_add_co_ci_u32_e32 v8, vcc_lo, 0, v14, vcc_lo
	s_mov_b32 s13, exec_lo
	s_delay_alu instid0(VALU_DEP_1)
	v_cmpx_gt_i64_e64 s[4:5], v[7:8]
	s_cbranch_execz .LBB14_14
; %bb.13:                               ;   in Loop: Header=BB14_8 Depth=1
	v_cvt_f32_u32_e32 v0, v1
	s_delay_alu instid0(VALU_DEP_1) | instskip(NEXT) | instid1(VALU_DEP_1)
	v_fmaak_f32 v0, 0x2f800000, v0, 0x2f800000
	v_cmp_gt_f32_e32 vcc_lo, 0x800000, v0
	v_cndmask_b32_e64 v1, 1.0, 0x4f800000, vcc_lo
	s_delay_alu instid0(VALU_DEP_1) | instskip(NEXT) | instid1(VALU_DEP_1)
	v_mul_f32_e32 v0, v0, v1
	v_log_f32_e32 v0, v0
	s_waitcnt_depctr 0xfff
	v_mul_f32_e32 v1, 0x3f317217, v0
	s_delay_alu instid0(VALU_DEP_1) | instskip(NEXT) | instid1(VALU_DEP_1)
	v_fma_f32 v7, 0x3f317217, v0, -v1
	v_fmac_f32_e32 v7, 0x3377d1cf, v0
	s_delay_alu instid0(VALU_DEP_1) | instskip(SKIP_2) | instid1(VALU_DEP_3)
	v_add_f32_e32 v1, v1, v7
	v_cndmask_b32_e64 v7, 0, 0x41b17218, vcc_lo
	v_cmp_gt_f32_e64 vcc_lo, 0x7f800000, |v0|
	v_cndmask_b32_e32 v0, v0, v1, vcc_lo
	s_delay_alu instid0(VALU_DEP_1) | instskip(NEXT) | instid1(VALU_DEP_1)
	v_sub_f32_e32 v0, v0, v7
	v_div_scale_f32 v1, null, v43, v43, v0
	v_div_scale_f32 v9, vcc_lo, v0, v43, v0
	s_delay_alu instid0(VALU_DEP_2) | instskip(SKIP_2) | instid1(VALU_DEP_1)
	v_rcp_f32_e32 v7, v1
	s_waitcnt_depctr 0xfff
	v_fma_f32 v8, -v1, v7, 1.0
	v_fmac_f32_e32 v7, v8, v7
	s_delay_alu instid0(VALU_DEP_1) | instskip(NEXT) | instid1(VALU_DEP_1)
	v_mul_f32_e32 v8, v9, v7
	v_fma_f32 v10, -v1, v8, v9
	s_delay_alu instid0(VALU_DEP_1) | instskip(NEXT) | instid1(VALU_DEP_1)
	v_fmac_f32_e32 v8, v10, v7
	v_fma_f32 v1, -v1, v8, v9
	s_delay_alu instid0(VALU_DEP_1) | instskip(SKIP_1) | instid1(VALU_DEP_2)
	v_div_fmas_f32 v1, v1, v7, v8
	v_add_nc_u32_e32 v8, s12, v42
	v_div_fixup_f32 v0, v1, v43, v0
	s_delay_alu instid0(VALU_DEP_1) | instskip(NEXT) | instid1(VALU_DEP_1)
	v_ceil_f32_e32 v0, v0
	v_mul_f32_e64 v1, 0x2f800000, |v0|
	v_ashrrev_i32_e32 v9, 31, v0
	s_delay_alu instid0(VALU_DEP_2) | instskip(NEXT) | instid1(VALU_DEP_1)
	v_floor_f32_e32 v1, v1
	v_fma_f32 v7, 0xcf800000, v1, |v0|
	v_cvt_u32_f32_e32 v0, v1
	s_delay_alu instid0(VALU_DEP_2) | instskip(SKIP_1) | instid1(VALU_DEP_3)
	v_cvt_u32_f32_e32 v1, v7
	v_ashrrev_i32_e32 v7, 31, v8
	v_xor_b32_e32 v10, v0, v9
	v_add_co_u32 v0, vcc_lo, s6, v8
	s_delay_alu instid0(VALU_DEP_4) | instskip(NEXT) | instid1(VALU_DEP_4)
	v_xor_b32_e32 v16, v1, v9
	v_add_co_ci_u32_e32 v1, vcc_lo, s7, v7, vcc_lo
	s_delay_alu instid0(VALU_DEP_2)
	v_sub_co_u32 v7, vcc_lo, v16, v9
	v_sub_co_ci_u32_e32 v8, vcc_lo, v10, v9, vcc_lo
	global_store_b64 v[0:1], v[7:8], off
.LBB14_14:                              ;   in Loop: Header=BB14_8 Depth=1
	s_or_b32 exec_lo, exec_lo, s13
	v_add_co_u32 v0, vcc_lo, s1, v13
	v_add_co_ci_u32_e32 v1, vcc_lo, 0, v14, vcc_lo
	s_mov_b32 s13, exec_lo
	s_delay_alu instid0(VALU_DEP_1)
	v_cmpx_gt_i64_e64 s[4:5], v[0:1]
	s_cbranch_execz .LBB14_16
; %bb.15:                               ;   in Loop: Header=BB14_8 Depth=1
	v_cvt_f32_u32_e32 v0, v2
	s_delay_alu instid0(VALU_DEP_1) | instskip(NEXT) | instid1(VALU_DEP_1)
	v_fmaak_f32 v0, 0x2f800000, v0, 0x2f800000
	v_cmp_gt_f32_e32 vcc_lo, 0x800000, v0
	v_cndmask_b32_e64 v1, 1.0, 0x4f800000, vcc_lo
	s_delay_alu instid0(VALU_DEP_1) | instskip(NEXT) | instid1(VALU_DEP_1)
	v_mul_f32_e32 v0, v0, v1
	v_log_f32_e32 v0, v0
	s_waitcnt_depctr 0xfff
	v_mul_f32_e32 v1, 0x3f317217, v0
	s_delay_alu instid0(VALU_DEP_1) | instskip(NEXT) | instid1(VALU_DEP_1)
	v_fma_f32 v2, 0x3f317217, v0, -v1
	v_fmac_f32_e32 v2, 0x3377d1cf, v0
	s_delay_alu instid0(VALU_DEP_1) | instskip(SKIP_2) | instid1(VALU_DEP_3)
	v_add_f32_e32 v1, v1, v2
	v_cndmask_b32_e64 v2, 0, 0x41b17218, vcc_lo
	v_cmp_gt_f32_e64 vcc_lo, 0x7f800000, |v0|
	v_cndmask_b32_e32 v0, v0, v1, vcc_lo
	s_delay_alu instid0(VALU_DEP_1) | instskip(NEXT) | instid1(VALU_DEP_1)
	v_sub_f32_e32 v0, v0, v2
	v_div_scale_f32 v1, null, v43, v43, v0
	v_div_scale_f32 v8, vcc_lo, v0, v43, v0
	s_delay_alu instid0(VALU_DEP_2) | instskip(SKIP_2) | instid1(VALU_DEP_1)
	v_rcp_f32_e32 v2, v1
	s_waitcnt_depctr 0xfff
	v_fma_f32 v7, -v1, v2, 1.0
	v_fmac_f32_e32 v2, v7, v2
	s_delay_alu instid0(VALU_DEP_1) | instskip(NEXT) | instid1(VALU_DEP_1)
	v_mul_f32_e32 v7, v8, v2
	v_fma_f32 v9, -v1, v7, v8
	s_delay_alu instid0(VALU_DEP_1) | instskip(NEXT) | instid1(VALU_DEP_1)
	v_fmac_f32_e32 v7, v9, v2
	v_fma_f32 v1, -v1, v7, v8
	s_delay_alu instid0(VALU_DEP_1) | instskip(SKIP_1) | instid1(VALU_DEP_2)
	v_div_fmas_f32 v1, v1, v2, v7
	v_add_nc_u32_e32 v7, s12, v41
	v_div_fixup_f32 v0, v1, v43, v0
	s_delay_alu instid0(VALU_DEP_1) | instskip(NEXT) | instid1(VALU_DEP_1)
	v_ceil_f32_e32 v0, v0
	v_mul_f32_e64 v1, 0x2f800000, |v0|
	v_ashrrev_i32_e32 v8, 31, v0
	s_delay_alu instid0(VALU_DEP_2) | instskip(NEXT) | instid1(VALU_DEP_1)
	v_floor_f32_e32 v1, v1
	v_fma_f32 v2, 0xcf800000, v1, |v0|
	v_cvt_u32_f32_e32 v0, v1
	s_delay_alu instid0(VALU_DEP_2) | instskip(SKIP_1) | instid1(VALU_DEP_3)
	v_cvt_u32_f32_e32 v1, v2
	v_ashrrev_i32_e32 v2, 31, v7
	v_xor_b32_e32 v9, v0, v8
	v_add_co_u32 v0, vcc_lo, s6, v7
	s_delay_alu instid0(VALU_DEP_4) | instskip(NEXT) | instid1(VALU_DEP_4)
	v_xor_b32_e32 v10, v1, v8
	v_add_co_ci_u32_e32 v1, vcc_lo, s7, v2, vcc_lo
	s_delay_alu instid0(VALU_DEP_2)
	v_sub_co_u32 v7, vcc_lo, v10, v8
	v_sub_co_ci_u32_e32 v8, vcc_lo, v9, v8, vcc_lo
	global_store_b64 v[0:1], v[7:8], off
.LBB14_16:                              ;   in Loop: Header=BB14_8 Depth=1
	s_or_b32 exec_lo, exec_lo, s13
	v_add_co_u32 v0, vcc_lo, s10, v13
	v_add_co_ci_u32_e32 v1, vcc_lo, 0, v14, vcc_lo
	s_mov_b32 s13, exec_lo
	s_delay_alu instid0(VALU_DEP_1)
	v_cmpx_gt_i64_e64 s[4:5], v[0:1]
	s_cbranch_execz .LBB14_7
; %bb.17:                               ;   in Loop: Header=BB14_8 Depth=1
	v_cvt_f32_u32_e32 v0, v3
	s_delay_alu instid0(VALU_DEP_1) | instskip(NEXT) | instid1(VALU_DEP_1)
	v_fmaak_f32 v0, 0x2f800000, v0, 0x2f800000
	v_cmp_gt_f32_e32 vcc_lo, 0x800000, v0
	v_cndmask_b32_e64 v1, 1.0, 0x4f800000, vcc_lo
	s_delay_alu instid0(VALU_DEP_1) | instskip(NEXT) | instid1(VALU_DEP_1)
	v_mul_f32_e32 v0, v0, v1
	v_log_f32_e32 v0, v0
	s_waitcnt_depctr 0xfff
	v_mul_f32_e32 v1, 0x3f317217, v0
	s_delay_alu instid0(VALU_DEP_1) | instskip(NEXT) | instid1(VALU_DEP_1)
	v_fma_f32 v2, 0x3f317217, v0, -v1
	v_fmac_f32_e32 v2, 0x3377d1cf, v0
	s_delay_alu instid0(VALU_DEP_1) | instskip(SKIP_2) | instid1(VALU_DEP_3)
	v_add_f32_e32 v1, v1, v2
	v_cndmask_b32_e64 v2, 0, 0x41b17218, vcc_lo
	v_cmp_gt_f32_e64 vcc_lo, 0x7f800000, |v0|
	v_cndmask_b32_e32 v0, v0, v1, vcc_lo
	s_delay_alu instid0(VALU_DEP_1) | instskip(NEXT) | instid1(VALU_DEP_1)
	v_sub_f32_e32 v0, v0, v2
	v_div_scale_f32 v1, null, v43, v43, v0
	v_div_scale_f32 v7, vcc_lo, v0, v43, v0
	s_delay_alu instid0(VALU_DEP_2) | instskip(SKIP_2) | instid1(VALU_DEP_1)
	v_rcp_f32_e32 v2, v1
	s_waitcnt_depctr 0xfff
	v_fma_f32 v3, -v1, v2, 1.0
	v_fmac_f32_e32 v2, v3, v2
	s_delay_alu instid0(VALU_DEP_1) | instskip(NEXT) | instid1(VALU_DEP_1)
	v_mul_f32_e32 v3, v7, v2
	v_fma_f32 v8, -v1, v3, v7
	s_delay_alu instid0(VALU_DEP_1) | instskip(NEXT) | instid1(VALU_DEP_1)
	v_fmac_f32_e32 v3, v8, v2
	v_fma_f32 v1, -v1, v3, v7
	s_delay_alu instid0(VALU_DEP_1) | instskip(SKIP_1) | instid1(VALU_DEP_2)
	v_div_fmas_f32 v1, v1, v2, v3
	v_add_nc_u32_e32 v3, s12, v40
	v_div_fixup_f32 v0, v1, v43, v0
	s_delay_alu instid0(VALU_DEP_1) | instskip(NEXT) | instid1(VALU_DEP_1)
	v_ceil_f32_e32 v0, v0
	v_mul_f32_e64 v1, 0x2f800000, |v0|
	v_ashrrev_i32_e32 v7, 31, v0
	s_delay_alu instid0(VALU_DEP_2) | instskip(NEXT) | instid1(VALU_DEP_1)
	v_floor_f32_e32 v1, v1
	v_fma_f32 v2, 0xcf800000, v1, |v0|
	v_cvt_u32_f32_e32 v0, v1
	s_delay_alu instid0(VALU_DEP_2) | instskip(SKIP_1) | instid1(VALU_DEP_3)
	v_cvt_u32_f32_e32 v1, v2
	v_ashrrev_i32_e32 v2, 31, v3
	v_xor_b32_e32 v8, v0, v7
	v_add_co_u32 v0, vcc_lo, s6, v3
	s_delay_alu instid0(VALU_DEP_4) | instskip(NEXT) | instid1(VALU_DEP_4)
	v_xor_b32_e32 v9, v1, v7
	v_add_co_ci_u32_e32 v1, vcc_lo, s7, v2, vcc_lo
	s_delay_alu instid0(VALU_DEP_2)
	v_sub_co_u32 v2, vcc_lo, v9, v7
	v_sub_co_ci_u32_e32 v3, vcc_lo, v8, v7, vcc_lo
	global_store_b64 v[0:1], v[2:3], off
	s_branch .LBB14_7
.LBB14_18:                              ;   in Loop: Header=BB14_8 Depth=1
	s_mov_b32 s14, exec_lo
	v_cmpx_lt_i32_e32 2, v17
	s_xor_b32 s14, exec_lo, s14
; %bb.19:                               ;   in Loop: Header=BB14_8 Depth=1
	v_dual_mov_b32 v7, v3 :: v_dual_mov_b32 v8, v4
	v_mov_b32_e32 v9, v5
	s_delay_alu instid0(VALU_DEP_2) | instskip(NEXT) | instid1(VALU_DEP_2)
	v_dual_mov_b32 v0, v7 :: v_dual_mov_b32 v1, v8
	v_dual_mov_b32 v2, v9 :: v_dual_mov_b32 v3, v10
; %bb.20:                               ;   in Loop: Header=BB14_8 Depth=1
	s_and_not1_saveexec_b32 s14, s14
; %bb.21:                               ;   in Loop: Header=BB14_8 Depth=1
	s_delay_alu instid0(VALU_DEP_1)
	v_dual_mov_b32 v0, v2 :: v_dual_mov_b32 v1, v3
	v_dual_mov_b32 v2, v4 :: v_dual_mov_b32 v3, v5
; %bb.22:                               ;   in Loop: Header=BB14_8 Depth=1
	s_or_b32 exec_lo, exec_lo, s14
	s_and_not1_saveexec_b32 s13, s13
	s_cbranch_execz .LBB14_10
.LBB14_23:                              ;   in Loop: Header=BB14_8 Depth=1
	s_mov_b32 s14, exec_lo
	v_cmpx_eq_u32_e32 1, v17
; %bb.24:                               ;   in Loop: Header=BB14_8 Depth=1
	v_dual_mov_b32 v0, v1 :: v_dual_mov_b32 v1, v2
	v_dual_mov_b32 v2, v3 :: v_dual_mov_b32 v3, v4
; %bb.25:                               ;   in Loop: Header=BB14_8 Depth=1
	s_or_b32 exec_lo, exec_lo, s14
	s_delay_alu instid0(SALU_CYCLE_1) | instskip(NEXT) | instid1(SALU_CYCLE_1)
	s_or_b32 exec_lo, exec_lo, s13
	s_mov_b32 s13, exec_lo
	v_cmpx_gt_i64_e64 s[4:5], v[13:14]
	s_cbranch_execnz .LBB14_11
	s_branch .LBB14_12
.LBB14_26:
	s_endpgm
.LBB14_27:
                                        ; implicit-def: $sgpr2_sgpr3
	s_branch .LBB14_4
	.section	.rodata,"a",@progbits
	.p2align	6, 0x0
	.amdhsa_kernel _ZN2at6native12_GLOBAL__N_143distribution_elementwise_grid_stride_kernelIfLi4EZNS0_9templates4cuda21uniform_and_transformIlfPNS_17CUDAGeneratorImplEZZZNS4_16geometric_kernelIS7_EEvRNS_18TensorIteratorBaseEdT_ENKUlvE_clEvENKUlvE2_clEvEUlfE_EEvSA_T1_T2_EUlP25hiprandStatePhilox4_32_10E0_ZNS1_27distribution_nullary_kernelIlf15HIP_vector_typeIfLj4EES7_SJ_SE_EEvSA_SG_RKT3_T4_EUlifE_EEvlNS_15PhiloxCudaStateESF_SG_
		.amdhsa_group_segment_fixed_size 0
		.amdhsa_private_segment_fixed_size 0
		.amdhsa_kernarg_size 328
		.amdhsa_user_sgpr_count 15
		.amdhsa_user_sgpr_dispatch_ptr 0
		.amdhsa_user_sgpr_queue_ptr 0
		.amdhsa_user_sgpr_kernarg_segment_ptr 1
		.amdhsa_user_sgpr_dispatch_id 0
		.amdhsa_user_sgpr_private_segment_size 0
		.amdhsa_wavefront_size32 1
		.amdhsa_uses_dynamic_stack 0
		.amdhsa_enable_private_segment 0
		.amdhsa_system_sgpr_workgroup_id_x 1
		.amdhsa_system_sgpr_workgroup_id_y 0
		.amdhsa_system_sgpr_workgroup_id_z 0
		.amdhsa_system_sgpr_workgroup_info 0
		.amdhsa_system_vgpr_workitem_id 0
		.amdhsa_next_free_vgpr 46
		.amdhsa_next_free_sgpr 23
		.amdhsa_reserve_vcc 1
		.amdhsa_float_round_mode_32 0
		.amdhsa_float_round_mode_16_64 0
		.amdhsa_float_denorm_mode_32 3
		.amdhsa_float_denorm_mode_16_64 3
		.amdhsa_dx10_clamp 1
		.amdhsa_ieee_mode 1
		.amdhsa_fp16_overflow 0
		.amdhsa_workgroup_processor_mode 1
		.amdhsa_memory_ordered 1
		.amdhsa_forward_progress 0
		.amdhsa_shared_vgpr_count 0
		.amdhsa_exception_fp_ieee_invalid_op 0
		.amdhsa_exception_fp_denorm_src 0
		.amdhsa_exception_fp_ieee_div_zero 0
		.amdhsa_exception_fp_ieee_overflow 0
		.amdhsa_exception_fp_ieee_underflow 0
		.amdhsa_exception_fp_ieee_inexact 0
		.amdhsa_exception_int_div_zero 0
	.end_amdhsa_kernel
	.section	.text._ZN2at6native12_GLOBAL__N_143distribution_elementwise_grid_stride_kernelIfLi4EZNS0_9templates4cuda21uniform_and_transformIlfPNS_17CUDAGeneratorImplEZZZNS4_16geometric_kernelIS7_EEvRNS_18TensorIteratorBaseEdT_ENKUlvE_clEvENKUlvE2_clEvEUlfE_EEvSA_T1_T2_EUlP25hiprandStatePhilox4_32_10E0_ZNS1_27distribution_nullary_kernelIlf15HIP_vector_typeIfLj4EES7_SJ_SE_EEvSA_SG_RKT3_T4_EUlifE_EEvlNS_15PhiloxCudaStateESF_SG_,"axG",@progbits,_ZN2at6native12_GLOBAL__N_143distribution_elementwise_grid_stride_kernelIfLi4EZNS0_9templates4cuda21uniform_and_transformIlfPNS_17CUDAGeneratorImplEZZZNS4_16geometric_kernelIS7_EEvRNS_18TensorIteratorBaseEdT_ENKUlvE_clEvENKUlvE2_clEvEUlfE_EEvSA_T1_T2_EUlP25hiprandStatePhilox4_32_10E0_ZNS1_27distribution_nullary_kernelIlf15HIP_vector_typeIfLj4EES7_SJ_SE_EEvSA_SG_RKT3_T4_EUlifE_EEvlNS_15PhiloxCudaStateESF_SG_,comdat
.Lfunc_end14:
	.size	_ZN2at6native12_GLOBAL__N_143distribution_elementwise_grid_stride_kernelIfLi4EZNS0_9templates4cuda21uniform_and_transformIlfPNS_17CUDAGeneratorImplEZZZNS4_16geometric_kernelIS7_EEvRNS_18TensorIteratorBaseEdT_ENKUlvE_clEvENKUlvE2_clEvEUlfE_EEvSA_T1_T2_EUlP25hiprandStatePhilox4_32_10E0_ZNS1_27distribution_nullary_kernelIlf15HIP_vector_typeIfLj4EES7_SJ_SE_EEvSA_SG_RKT3_T4_EUlifE_EEvlNS_15PhiloxCudaStateESF_SG_, .Lfunc_end14-_ZN2at6native12_GLOBAL__N_143distribution_elementwise_grid_stride_kernelIfLi4EZNS0_9templates4cuda21uniform_and_transformIlfPNS_17CUDAGeneratorImplEZZZNS4_16geometric_kernelIS7_EEvRNS_18TensorIteratorBaseEdT_ENKUlvE_clEvENKUlvE2_clEvEUlfE_EEvSA_T1_T2_EUlP25hiprandStatePhilox4_32_10E0_ZNS1_27distribution_nullary_kernelIlf15HIP_vector_typeIfLj4EES7_SJ_SE_EEvSA_SG_RKT3_T4_EUlifE_EEvlNS_15PhiloxCudaStateESF_SG_
                                        ; -- End function
	.section	.AMDGPU.csdata,"",@progbits
; Kernel info:
; codeLenInByte = 4688
; NumSgprs: 25
; NumVgprs: 46
; ScratchSize: 0
; MemoryBound: 0
; FloatMode: 240
; IeeeMode: 1
; LDSByteSize: 0 bytes/workgroup (compile time only)
; SGPRBlocks: 3
; VGPRBlocks: 5
; NumSGPRsForWavesPerEU: 25
; NumVGPRsForWavesPerEU: 46
; Occupancy: 16
; WaveLimiterHint : 0
; COMPUTE_PGM_RSRC2:SCRATCH_EN: 0
; COMPUTE_PGM_RSRC2:USER_SGPR: 15
; COMPUTE_PGM_RSRC2:TRAP_HANDLER: 0
; COMPUTE_PGM_RSRC2:TGID_X_EN: 1
; COMPUTE_PGM_RSRC2:TGID_Y_EN: 0
; COMPUTE_PGM_RSRC2:TGID_Z_EN: 0
; COMPUTE_PGM_RSRC2:TIDIG_COMP_CNT: 0
	.section	.text._ZN2at6native12_GLOBAL__N_143distribution_elementwise_grid_stride_kernelIfLi4EZNS0_9templates4cuda21uniform_and_transformIlfPNS_17CUDAGeneratorImplEZZZNS4_16geometric_kernelIS7_EEvRNS_18TensorIteratorBaseEdT_ENKUlvE_clEvENKUlvE2_clEvEUlfE_EEvSA_T1_T2_EUlP25hiprandStatePhilox4_32_10E0_ZNS1_27distribution_nullary_kernelIlf15HIP_vector_typeIfLj4EES7_SJ_SE_EEvSA_SG_RKT3_T4_EUlifE0_EEvlNS_15PhiloxCudaStateESF_SG_,"axG",@progbits,_ZN2at6native12_GLOBAL__N_143distribution_elementwise_grid_stride_kernelIfLi4EZNS0_9templates4cuda21uniform_and_transformIlfPNS_17CUDAGeneratorImplEZZZNS4_16geometric_kernelIS7_EEvRNS_18TensorIteratorBaseEdT_ENKUlvE_clEvENKUlvE2_clEvEUlfE_EEvSA_T1_T2_EUlP25hiprandStatePhilox4_32_10E0_ZNS1_27distribution_nullary_kernelIlf15HIP_vector_typeIfLj4EES7_SJ_SE_EEvSA_SG_RKT3_T4_EUlifE0_EEvlNS_15PhiloxCudaStateESF_SG_,comdat
	.globl	_ZN2at6native12_GLOBAL__N_143distribution_elementwise_grid_stride_kernelIfLi4EZNS0_9templates4cuda21uniform_and_transformIlfPNS_17CUDAGeneratorImplEZZZNS4_16geometric_kernelIS7_EEvRNS_18TensorIteratorBaseEdT_ENKUlvE_clEvENKUlvE2_clEvEUlfE_EEvSA_T1_T2_EUlP25hiprandStatePhilox4_32_10E0_ZNS1_27distribution_nullary_kernelIlf15HIP_vector_typeIfLj4EES7_SJ_SE_EEvSA_SG_RKT3_T4_EUlifE0_EEvlNS_15PhiloxCudaStateESF_SG_ ; -- Begin function _ZN2at6native12_GLOBAL__N_143distribution_elementwise_grid_stride_kernelIfLi4EZNS0_9templates4cuda21uniform_and_transformIlfPNS_17CUDAGeneratorImplEZZZNS4_16geometric_kernelIS7_EEvRNS_18TensorIteratorBaseEdT_ENKUlvE_clEvENKUlvE2_clEvEUlfE_EEvSA_T1_T2_EUlP25hiprandStatePhilox4_32_10E0_ZNS1_27distribution_nullary_kernelIlf15HIP_vector_typeIfLj4EES7_SJ_SE_EEvSA_SG_RKT3_T4_EUlifE0_EEvlNS_15PhiloxCudaStateESF_SG_
	.p2align	8
	.type	_ZN2at6native12_GLOBAL__N_143distribution_elementwise_grid_stride_kernelIfLi4EZNS0_9templates4cuda21uniform_and_transformIlfPNS_17CUDAGeneratorImplEZZZNS4_16geometric_kernelIS7_EEvRNS_18TensorIteratorBaseEdT_ENKUlvE_clEvENKUlvE2_clEvEUlfE_EEvSA_T1_T2_EUlP25hiprandStatePhilox4_32_10E0_ZNS1_27distribution_nullary_kernelIlf15HIP_vector_typeIfLj4EES7_SJ_SE_EEvSA_SG_RKT3_T4_EUlifE0_EEvlNS_15PhiloxCudaStateESF_SG_,@function
_ZN2at6native12_GLOBAL__N_143distribution_elementwise_grid_stride_kernelIfLi4EZNS0_9templates4cuda21uniform_and_transformIlfPNS_17CUDAGeneratorImplEZZZNS4_16geometric_kernelIS7_EEvRNS_18TensorIteratorBaseEdT_ENKUlvE_clEvENKUlvE2_clEvEUlfE_EEvSA_T1_T2_EUlP25hiprandStatePhilox4_32_10E0_ZNS1_27distribution_nullary_kernelIlf15HIP_vector_typeIfLj4EES7_SJ_SE_EEvSA_SG_RKT3_T4_EUlifE0_EEvlNS_15PhiloxCudaStateESF_SG_: ; @_ZN2at6native12_GLOBAL__N_143distribution_elementwise_grid_stride_kernelIfLi4EZNS0_9templates4cuda21uniform_and_transformIlfPNS_17CUDAGeneratorImplEZZZNS4_16geometric_kernelIS7_EEvRNS_18TensorIteratorBaseEdT_ENKUlvE_clEvENKUlvE2_clEvEUlfE_EEvSA_T1_T2_EUlP25hiprandStatePhilox4_32_10E0_ZNS1_27distribution_nullary_kernelIlf15HIP_vector_typeIfLj4EES7_SJ_SE_EEvSA_SG_RKT3_T4_EUlifE0_EEvlNS_15PhiloxCudaStateESF_SG_
; %bb.0:
	s_clause 0x2
	s_load_b64 s[4:5], s[0:1], 0x10
	s_load_b128 s[16:19], s[0:1], 0x0
	s_load_b32 s2, s[0:1], 0x20
	s_waitcnt lgkmcnt(0)
	v_dual_mov_b32 v2, s4 :: v_dual_mov_b32 v3, s5
	v_dual_mov_b32 v11, s18 :: v_dual_mov_b32 v12, s19
	s_bitcmp0_b32 s2, 0
	s_mov_b32 s2, 0
	s_cbranch_scc1 .LBB15_2
; %bb.1:
	v_dual_mov_b32 v1, s4 :: v_dual_mov_b32 v2, s5
	v_dual_mov_b32 v4, s18 :: v_dual_mov_b32 v5, s19
	s_load_b64 s[4:5], s[0:1], 0x18
	flat_load_b64 v[2:3], v[1:2]
	flat_load_b64 v[11:12], v[4:5]
	s_waitcnt vmcnt(1) lgkmcnt(0)
	v_add_co_u32 v2, vcc_lo, v2, s4
	v_add_co_ci_u32_e32 v3, vcc_lo, s5, v3, vcc_lo
.LBB15_2:
	s_clause 0x1
	s_load_b32 s3, s[0:1], 0x154
	s_load_b32 s4, s[0:1], 0x148
	s_waitcnt lgkmcnt(0)
	s_and_b32 s5, s3, 0xffff
	s_add_u32 s6, s16, -1
	s_mul_i32 s24, s4, s5
	s_addc_u32 s3, s17, -1
	s_lshl_b32 s25, s24, 2
	s_cmp_lg_u64 s[2:3], 0
	s_cbranch_scc0 .LBB15_79
; %bb.3:
	v_cvt_f32_ubyte0_e32 v1, 0
	v_cvt_f32_u32_e32 v4, s25
	s_sub_u32 s8, 0, s25
	s_subb_u32 s9, 0, 0
	s_delay_alu instid0(VALU_DEP_1) | instskip(NEXT) | instid1(VALU_DEP_1)
	v_fmamk_f32 v1, v1, 0x4f800000, v4
	v_rcp_f32_e32 v1, v1
	s_waitcnt_depctr 0xfff
	v_mul_f32_e32 v1, 0x5f7ffffc, v1
	s_delay_alu instid0(VALU_DEP_1) | instskip(NEXT) | instid1(VALU_DEP_1)
	v_mul_f32_e32 v4, 0x2f800000, v1
	v_trunc_f32_e32 v4, v4
	s_delay_alu instid0(VALU_DEP_1) | instskip(SKIP_1) | instid1(VALU_DEP_2)
	v_fmamk_f32 v1, v4, 0xcf800000, v1
	v_cvt_u32_f32_e32 v4, v4
	v_cvt_u32_f32_e32 v1, v1
	s_delay_alu instid0(VALU_DEP_2) | instskip(NEXT) | instid1(VALU_DEP_2)
	v_readfirstlane_b32 s2, v4
	v_readfirstlane_b32 s7, v1
	s_delay_alu instid0(VALU_DEP_2) | instskip(NEXT) | instid1(VALU_DEP_1)
	s_mul_i32 s10, s8, s2
	s_mul_hi_u32 s12, s8, s7
	s_mul_i32 s11, s9, s7
	s_add_i32 s10, s12, s10
	s_mul_i32 s13, s8, s7
	s_add_i32 s10, s10, s11
	s_mul_hi_u32 s12, s7, s13
	s_mul_hi_u32 s14, s2, s13
	s_mul_i32 s11, s2, s13
	s_mul_hi_u32 s13, s7, s10
	s_mul_i32 s7, s7, s10
	s_mul_hi_u32 s18, s2, s10
	s_add_u32 s7, s12, s7
	s_addc_u32 s12, 0, s13
	s_add_u32 s7, s7, s11
	s_mul_i32 s10, s2, s10
	s_addc_u32 s7, s12, s14
	s_addc_u32 s11, s18, 0
	s_add_u32 s7, s7, s10
	s_addc_u32 s10, 0, s11
	v_add_co_u32 v1, s7, v1, s7
	s_delay_alu instid0(VALU_DEP_1) | instskip(SKIP_1) | instid1(VALU_DEP_1)
	s_cmp_lg_u32 s7, 0
	s_addc_u32 s2, s2, s10
	v_readfirstlane_b32 s7, v1
	s_mul_i32 s10, s8, s2
	s_delay_alu instid0(VALU_DEP_1)
	s_mul_hi_u32 s11, s8, s7
	s_mul_i32 s9, s9, s7
	s_add_i32 s10, s11, s10
	s_mul_i32 s8, s8, s7
	s_add_i32 s10, s10, s9
	s_mul_hi_u32 s11, s2, s8
	s_mul_i32 s12, s2, s8
	s_mul_hi_u32 s8, s7, s8
	s_mul_hi_u32 s13, s7, s10
	s_mul_i32 s7, s7, s10
	s_mul_hi_u32 s9, s2, s10
	s_add_u32 s7, s8, s7
	s_addc_u32 s8, 0, s13
	s_add_u32 s7, s7, s12
	s_mul_i32 s10, s2, s10
	s_addc_u32 s7, s8, s11
	s_addc_u32 s8, s9, 0
	s_add_u32 s7, s7, s10
	s_addc_u32 s8, 0, s8
	v_add_co_u32 v1, s7, v1, s7
	s_delay_alu instid0(VALU_DEP_1) | instskip(SKIP_2) | instid1(VALU_DEP_1)
	s_cmp_lg_u32 s7, 0
	s_addc_u32 s7, s2, s8
	s_ashr_i32 s8, s3, 31
	v_readfirstlane_b32 s10, v1
	s_add_u32 s2, s6, s8
	s_mov_b32 s9, s8
	s_addc_u32 s3, s3, s8
	s_delay_alu instid0(SALU_CYCLE_1) | instskip(NEXT) | instid1(SALU_CYCLE_1)
	s_xor_b64 s[2:3], s[2:3], s[8:9]
	s_mul_i32 s12, s2, s7
	s_mul_hi_u32 s13, s2, s10
	s_mul_hi_u32 s11, s2, s7
	;; [unrolled: 1-line block ×3, first 2 shown]
	s_mul_i32 s10, s3, s10
	s_add_u32 s12, s13, s12
	s_addc_u32 s11, 0, s11
	s_mul_hi_u32 s14, s3, s7
	s_add_u32 s10, s12, s10
	s_mul_i32 s7, s3, s7
	s_addc_u32 s10, s11, s18
	s_addc_u32 s11, s14, 0
	s_add_u32 s7, s10, s7
	s_addc_u32 s10, 0, s11
	s_mul_i32 s12, s25, s7
	s_add_u32 s11, s7, 1
	v_sub_co_u32 v1, s2, s2, s12
	s_mul_hi_u32 s12, s25, s7
	s_addc_u32 s13, s10, 0
	s_mul_i32 s14, s25, s10
	s_delay_alu instid0(VALU_DEP_1)
	v_sub_co_u32 v4, s18, v1, s25
	s_add_u32 s19, s7, 2
	s_addc_u32 s20, s10, 0
	s_add_i32 s12, s12, s14
	s_cmp_lg_u32 s2, 0
	v_readfirstlane_b32 s2, v4
	s_subb_u32 s3, s3, s12
	s_cmp_lg_u32 s18, 0
	s_subb_u32 s12, s3, 0
	s_delay_alu instid0(VALU_DEP_1) | instskip(SKIP_4) | instid1(SALU_CYCLE_1)
	s_cmp_ge_u32 s2, s25
	s_cselect_b32 s2, -1, 0
	s_cmp_eq_u32 s12, 0
	v_readfirstlane_b32 s12, v1
	s_cselect_b32 s2, s2, -1
	s_cmp_lg_u32 s2, 0
	s_cselect_b32 s2, s19, s11
	s_cselect_b32 s11, s20, s13
	s_cmp_ge_u32 s12, s25
	s_cselect_b32 s12, -1, 0
	s_cmp_eq_u32 s3, 0
	s_cselect_b32 s3, s12, -1
	s_delay_alu instid0(SALU_CYCLE_1) | instskip(SKIP_2) | instid1(SALU_CYCLE_1)
	s_cmp_lg_u32 s3, 0
	s_cselect_b32 s3, s11, s10
	s_cselect_b32 s2, s2, s7
	s_xor_b64 s[2:3], s[2:3], s[8:9]
	s_delay_alu instid0(SALU_CYCLE_1)
	s_sub_u32 s2, s2, s8
	s_subb_u32 s3, s3, s8
	s_cbranch_execnz .LBB15_5
.LBB15_4:
	v_cvt_f32_u32_e32 v1, s25
	s_sub_i32 s3, 0, s25
	s_delay_alu instid0(VALU_DEP_1) | instskip(SKIP_2) | instid1(VALU_DEP_1)
	v_rcp_iflag_f32_e32 v1, v1
	s_waitcnt_depctr 0xfff
	v_mul_f32_e32 v1, 0x4f7ffffe, v1
	v_cvt_u32_f32_e32 v1, v1
	s_delay_alu instid0(VALU_DEP_1) | instskip(NEXT) | instid1(VALU_DEP_1)
	v_readfirstlane_b32 s2, v1
	s_mul_i32 s3, s3, s2
	s_delay_alu instid0(SALU_CYCLE_1) | instskip(NEXT) | instid1(SALU_CYCLE_1)
	s_mul_hi_u32 s3, s2, s3
	s_add_i32 s2, s2, s3
	s_delay_alu instid0(SALU_CYCLE_1) | instskip(NEXT) | instid1(SALU_CYCLE_1)
	s_mul_hi_u32 s2, s6, s2
	s_mul_i32 s3, s2, s25
	s_delay_alu instid0(SALU_CYCLE_1)
	s_sub_i32 s3, s6, s3
	s_add_i32 s6, s2, 1
	s_sub_i32 s7, s3, s25
	s_cmp_ge_u32 s3, s25
	s_cselect_b32 s2, s6, s2
	s_cselect_b32 s3, s7, s3
	s_add_i32 s6, s2, 1
	s_cmp_ge_u32 s3, s25
	s_mov_b32 s3, 0
	s_cselect_b32 s2, s6, s2
.LBB15_5:
	v_mov_b32_e32 v1, 0
	s_add_u32 s2, s2, 1
	s_addc_u32 s3, s3, 0
	s_mul_hi_u32 s6, s24, s2
	s_mul_i32 s3, s24, s3
	v_mad_u64_u32 v[13:14], null, s5, s15, v[0:1]
	s_mul_hi_u32 s4, s4, s5
	s_add_i32 s3, s6, s3
	s_mul_i32 s4, s4, s2
	s_mul_i32 s2, s24, s2
	s_add_i32 s3, s3, s4
	s_mov_b32 s4, exec_lo
	s_lshl_b64 s[2:3], s[2:3], 2
	s_delay_alu instid0(SALU_CYCLE_1)
	v_cmpx_gt_i64_e64 s[2:3], v[13:14]
	s_cbranch_execz .LBB15_78
; %bb.6:
	s_load_b128 s[12:15], s[0:1], 0x138
	v_alignbit_b32 v24, v3, v2, 2
	s_waitcnt vmcnt(0)
	v_dual_mov_b32 v38, v12 :: v_dual_add_nc_u32 v19, 0x96a522ad, v12
	v_add_co_u32 v23, null, 0x9e3779b9, v11
	s_load_b256 s[4:11], s[0:1], 0x30
	s_waitcnt lgkmcnt(0)
	s_mov_b32 s11, 0x3e9b6dac
	v_add_co_u32 v26, null, 0x3c6ef372, v11
	v_add_co_u32 v32, null, 0x76cf5d0a, v38
	;; [unrolled: 1-line block ×6, first 2 shown]
	v_cvt_f32_f64_e32 v9, s[14:15]
	v_add_co_u32 v28, null, 0xb54cda56, v11
	v_add_co_u32 v33, null, 0xdb3d7428, v38
	;; [unrolled: 1-line block ×3, first 2 shown]
	s_add_u32 s18, s0, 48
	v_add_co_u32 v30, null, 0xf1bbcdc8, v11
	s_addc_u32 s19, s1, 0
	s_add_i32 s20, s4, -1
	s_load_b64 s[14:15], s[0:1], 0xf4
	s_cmp_gt_u32 s20, 1
	s_mov_b32 s26, 0
	s_mul_i32 s33, s24, 3
	v_add_nc_u32_e32 v18, 0x8ff34781, v11
	v_sub_f32_e32 v4, 1.0, v9
	s_delay_alu instid0(VALU_DEP_1) | instskip(NEXT) | instid1(VALU_DEP_1)
	v_cvt_f64_f32_e32 v[0:1], v4
	v_frexp_exp_i32_f64_e32 v0, v[0:1]
	v_frexp_mant_f32_e32 v1, v4
	s_delay_alu instid0(VALU_DEP_1) | instskip(NEXT) | instid1(VALU_DEP_3)
	v_cmp_gt_f32_e32 vcc_lo, 0x3f2aaaab, v1
	v_subrev_co_ci_u32_e32 v8, vcc_lo, 0, v0, vcc_lo
	v_add_f32_e32 v0, -1.0, v4
	v_cmp_eq_f32_e32 vcc_lo, 0xff800000, v9
	s_delay_alu instid0(VALU_DEP_3) | instskip(SKIP_1) | instid1(VALU_DEP_4)
	v_sub_nc_u32_e32 v1, 0, v8
	v_cvt_f32_i32_e32 v8, v8
	v_sub_f32_e32 v5, v0, v4
	s_delay_alu instid0(VALU_DEP_3) | instskip(NEXT) | instid1(VALU_DEP_2)
	v_ldexp_f32 v4, v4, v1
	v_add_f32_e32 v5, 1.0, v5
	v_sub_f32_e64 v0, -v9, v0
	s_delay_alu instid0(VALU_DEP_3) | instskip(NEXT) | instid1(VALU_DEP_1)
	v_add_f32_e32 v6, 1.0, v4
	v_dual_add_f32 v0, v0, v5 :: v_dual_add_f32 v5, -1.0, v6
	s_delay_alu instid0(VALU_DEP_1) | instskip(SKIP_1) | instid1(VALU_DEP_3)
	v_ldexp_f32 v0, v0, v1
	v_add_f32_e32 v1, -1.0, v4
	v_sub_f32_e32 v5, v4, v5
	s_delay_alu instid0(VALU_DEP_2) | instskip(NEXT) | instid1(VALU_DEP_2)
	v_add_f32_e32 v7, 1.0, v1
	v_add_f32_e32 v5, v0, v5
	s_delay_alu instid0(VALU_DEP_2) | instskip(NEXT) | instid1(VALU_DEP_1)
	v_sub_f32_e32 v4, v4, v7
	v_add_f32_e32 v0, v0, v4
	s_delay_alu instid0(VALU_DEP_1) | instskip(NEXT) | instid1(VALU_DEP_1)
	v_dual_add_f32 v4, v1, v0 :: v_dual_add_f32 v7, v6, v5
	v_sub_f32_e32 v1, v4, v1
	s_delay_alu instid0(VALU_DEP_2) | instskip(SKIP_1) | instid1(VALU_DEP_1)
	v_rcp_f32_e32 v10, v7
	v_sub_f32_e32 v6, v7, v6
	v_dual_sub_f32 v0, v0, v1 :: v_dual_sub_f32 v5, v5, v6
	s_waitcnt_depctr 0xfff
	v_mul_f32_e32 v15, v4, v10
	s_delay_alu instid0(VALU_DEP_1) | instskip(NEXT) | instid1(VALU_DEP_1)
	v_mul_f32_e32 v16, v7, v15
	v_fma_f32 v6, v15, v7, -v16
	s_delay_alu instid0(VALU_DEP_1) | instskip(NEXT) | instid1(VALU_DEP_1)
	v_fmac_f32_e32 v6, v15, v5
	v_add_f32_e32 v17, v16, v6
	s_delay_alu instid0(VALU_DEP_1) | instskip(NEXT) | instid1(VALU_DEP_1)
	v_sub_f32_e32 v25, v4, v17
	v_dual_sub_f32 v1, v17, v16 :: v_dual_sub_f32 v4, v4, v25
	s_delay_alu instid0(VALU_DEP_1) | instskip(NEXT) | instid1(VALU_DEP_1)
	v_dual_sub_f32 v1, v1, v6 :: v_dual_sub_f32 v4, v4, v17
	v_dual_add_f32 v0, v0, v4 :: v_dual_and_b32 v17, 3, v2
	s_delay_alu instid0(VALU_DEP_1) | instskip(SKIP_1) | instid1(VALU_DEP_2)
	v_add_f32_e32 v4, v1, v0
	v_mad_u64_u32 v[0:1], null, 0xcd9e8d57, v13, 0
	v_add_f32_e32 v6, v25, v4
	s_delay_alu instid0(VALU_DEP_1) | instskip(SKIP_2) | instid1(VALU_DEP_3)
	v_mul_f32_e32 v16, v10, v6
	v_sub_f32_e32 v2, v25, v6
	v_lshrrev_b32_e32 v25, 2, v3
	v_mul_f32_e32 v27, v7, v16
	v_add_f32_e32 v36, v15, v16
	s_delay_alu instid0(VALU_DEP_3) | instskip(SKIP_1) | instid1(VALU_DEP_4)
	v_xor3_b32 v1, v11, v1, v25
	v_add_f32_e32 v4, v4, v2
	v_fma_f32 v7, v16, v7, -v27
	s_delay_alu instid0(VALU_DEP_1) | instskip(NEXT) | instid1(VALU_DEP_1)
	v_fmac_f32_e32 v7, v16, v5
	v_add_f32_e32 v5, v27, v7
	s_delay_alu instid0(VALU_DEP_1) | instskip(NEXT) | instid1(VALU_DEP_1)
	v_sub_f32_e32 v29, v6, v5
	v_dual_sub_f32 v3, v6, v29 :: v_dual_sub_f32 v6, v5, v27
	v_add_co_u32 v27, null, 0x78dde6e4, v11
	s_delay_alu instid0(VALU_DEP_2) | instskip(SKIP_2) | instid1(VALU_DEP_3)
	v_dual_sub_f32 v5, v3, v5 :: v_dual_sub_f32 v6, v6, v7
	v_mad_u64_u32 v[2:3], null, 0xd2511f53, v24, 0
	v_sub_f32_e32 v7, v36, v15
	v_add_f32_e32 v4, v4, v5
	s_delay_alu instid0(VALU_DEP_3) | instskip(NEXT) | instid1(VALU_DEP_2)
	v_xor_b32_e32 v5, v3, v12
	v_add_f32_e32 v6, v6, v4
	v_mad_u64_u32 v[3:4], null, 0xd2511f53, v1, 0
	s_delay_alu instid0(VALU_DEP_3) | instskip(NEXT) | instid1(VALU_DEP_3)
	v_xor_b32_e32 v1, v5, v14
	v_add_f32_e32 v15, v29, v6
	v_add_co_u32 v29, null, 0xbb67ae85, v38
	s_delay_alu instid0(VALU_DEP_3) | instskip(SKIP_1) | instid1(VALU_DEP_4)
	v_mad_u64_u32 v[5:6], null, 0xcd9e8d57, v1, 0
	v_sub_f32_e32 v1, v16, v7
	v_mul_f32_e32 v7, v10, v15
	s_delay_alu instid0(VALU_DEP_4) | instskip(NEXT) | instid1(VALU_DEP_4)
	v_xor3_b32 v4, v29, v4, v2
	v_xor3_b32 v0, v23, v6, v0
	s_delay_alu instid0(VALU_DEP_3) | instskip(NEXT) | instid1(VALU_DEP_3)
	v_add_f32_e32 v10, v1, v7
	v_mad_u64_u32 v[1:2], null, 0xcd9e8d57, v4, 0
	s_delay_alu instid0(VALU_DEP_3) | instskip(NEXT) | instid1(VALU_DEP_3)
	v_mad_u64_u32 v[6:7], null, 0xd2511f53, v0, 0
	v_add_f32_e32 v15, v36, v10
	v_mov_b32_e32 v31, v13
	s_delay_alu instid0(VALU_DEP_4) | instskip(NEXT) | instid1(VALU_DEP_3)
	v_xor3_b32 v2, v26, v2, v5
	v_mul_f32_e32 v0, v15, v15
	v_xor3_b32 v7, v32, v7, v3
	s_delay_alu instid0(VALU_DEP_3) | instskip(NEXT) | instid1(VALU_DEP_3)
	v_mad_u64_u32 v[4:5], null, 0xd2511f53, v2, 0
	v_fmaak_f32 v16, s11, v0, 0x3ecc95a3
	s_delay_alu instid0(VALU_DEP_3) | instskip(SKIP_2) | instid1(VALU_DEP_3)
	v_mad_u64_u32 v[2:3], null, 0xcd9e8d57, v7, 0
	v_mul_f32_e32 v35, v15, v0
	s_cselect_b32 s11, -1, 0
	v_fmaak_f32 v0, v0, v16, 0x3f2aaada
	s_cmp_lg_u32 s4, 0
	s_cselect_b32 s27, -1, 0
	s_delay_alu instid0(VALU_DEP_3) | instskip(NEXT) | instid1(VALU_DEP_2)
	v_xor3_b32 v3, v22, v3, v1
	v_mul_f32_e32 v16, v35, v0
	v_xor3_b32 v0, v34, v5, v6
	v_mul_f32_e32 v40, 0x3f317218, v8
	v_ldexp_f32 v7, v15, 1
	v_add_co_u32 v35, null, 0x646e171e, v38
	s_delay_alu instid0(VALU_DEP_4)
	v_mad_u64_u32 v[5:6], null, 0xcd9e8d57, v0, 0
	v_mad_u64_u32 v[0:1], null, 0xd2511f53, v3, 0
	v_fma_f32 v3, 0x3f317218, v8, -v40
	v_sub_f32_e32 v15, v15, v36
	v_add_co_u32 v36, null, 0xed9eba14, v38
	v_xor3_b32 v6, v27, v6, v2
	s_delay_alu instid0(VALU_DEP_4) | instskip(NEXT) | instid1(VALU_DEP_4)
	v_dual_fmamk_f32 v8, v8, 0xb102e308, v3 :: v_dual_add_f32 v39, v7, v16
	v_sub_f32_e32 v10, v10, v15
	s_delay_alu instid0(VALU_DEP_4) | instskip(NEXT) | instid1(VALU_DEP_4)
	v_xor3_b32 v1, v36, v1, v4
	v_mad_u64_u32 v[2:3], null, 0xd2511f53, v6, 0
	s_delay_alu instid0(VALU_DEP_4) | instskip(NEXT) | instid1(VALU_DEP_4)
	v_sub_f32_e32 v7, v39, v7
	v_ldexp_f32 v10, v10, 1
	v_add_co_u32 v38, null, 0x1fd5c5a3, v38
	s_add_u32 s0, s0, 0xf4
	s_delay_alu instid0(VALU_DEP_3)
	v_sub_f32_e32 v7, v16, v7
	v_add_f32_e32 v15, v40, v8
	v_xor3_b32 v3, v37, v3, v0
	s_addc_u32 s1, s1, 0
	s_min_u32 s21, s20, 15
	v_add_f32_e32 v10, v10, v7
	v_mad_u64_u32 v[6:7], null, 0xcd9e8d57, v1, 0
	v_mad_u64_u32 v[0:1], null, 0xcd9e8d57, v3, 0
	s_cmp_gt_u32 s4, 1
	s_cselect_b32 s4, -1, 0
	s_add_i32 s21, s21, 1
	s_delay_alu instid0(VALU_DEP_2) | instskip(SKIP_2) | instid1(VALU_DEP_4)
	v_xor3_b32 v5, v21, v7, v5
	v_sub_f32_e32 v7, v15, v40
	v_add_f32_e32 v16, v39, v10
	v_xor3_b32 v6, v28, v1, v6
	s_lshl_b32 s28, s24, 1
	v_mad_u64_u32 v[3:4], null, 0xd2511f53, v5, 0
	v_sub_f32_e32 v7, v8, v7
	v_sub_f32_e32 v39, v16, v39
	v_add_f32_e32 v41, v15, v16
	s_and_b32 s29, s21, 3
	s_cmp_lg_u32 s20, 2
	v_cmp_gt_f32_e64 s20, 0x33800000, |v9|
	v_sub_f32_e32 v8, v10, v39
	v_sub_f32_e32 v42, v41, v15
	s_cselect_b32 s30, -1, 0
	s_and_b32 s31, s21, 28
	s_cmp_lg_u32 s29, 0
	s_delay_alu instid0(VALU_DEP_1) | instskip(SKIP_1) | instid1(VALU_DEP_1)
	v_sub_f32_e32 v40, v41, v42
	s_cselect_b32 s34, -1, 0
	v_sub_f32_e32 v10, v15, v40
	v_add_f32_e32 v15, v7, v8
	v_dual_sub_f32 v5, v16, v42 :: v_dual_mov_b32 v40, v14
	s_delay_alu instid0(VALU_DEP_1) | instskip(SKIP_2) | instid1(VALU_DEP_3)
	v_dual_sub_f32 v16, v15, v7 :: v_dual_add_f32 v5, v5, v10
	v_xor3_b32 v10, v35, v4, v2
	v_mad_u64_u32 v[1:2], null, 0xd2511f53, v6, 0
	v_sub_f32_e32 v6, v15, v16
	s_delay_alu instid0(VALU_DEP_4) | instskip(NEXT) | instid1(VALU_DEP_4)
	v_dual_add_f32 v39, v15, v5 :: v_dual_sub_f32 v8, v8, v16
	v_mad_u64_u32 v[4:5], null, 0xcd9e8d57, v10, 0
	s_delay_alu instid0(VALU_DEP_3) | instskip(NEXT) | instid1(VALU_DEP_3)
	v_sub_f32_e32 v6, v7, v6
	v_add_f32_e32 v10, v41, v39
	v_xor3_b32 v2, v38, v2, v3
	s_delay_alu instid0(VALU_DEP_3) | instskip(NEXT) | instid1(VALU_DEP_3)
	v_add_f32_e32 v3, v8, v6
	v_sub_f32_e32 v7, v10, v41
	v_xor3_b32 v0, v20, v5, v0
	s_delay_alu instid0(VALU_DEP_4) | instskip(NEXT) | instid1(VALU_DEP_3)
	v_mad_u64_u32 v[5:6], null, 0xcd9e8d57, v2, 0
	v_sub_f32_e32 v15, v39, v7
	s_delay_alu instid0(VALU_DEP_3) | instskip(NEXT) | instid1(VALU_DEP_2)
	v_mad_u64_u32 v[7:8], null, 0xd2511f53, v0, 0
	v_add_f32_e32 v0, v3, v15
	s_delay_alu instid0(VALU_DEP_4) | instskip(NEXT) | instid1(VALU_DEP_3)
	v_xor3_b32 v2, v30, v6, v4
	v_xor3_b32 v6, v33, v8, v1
	s_delay_alu instid0(VALU_DEP_3) | instskip(NEXT) | instid1(VALU_DEP_3)
	v_add_f32_e32 v0, v10, v0
	v_mad_u64_u32 v[3:4], null, 0xd2511f53, v2, 0
	s_delay_alu instid0(VALU_DEP_3) | instskip(NEXT) | instid1(VALU_DEP_3)
	v_mad_u64_u32 v[1:2], null, 0xcd9e8d57, v6, 0
	v_cndmask_b32_e64 v0, v0, -v9, vcc_lo
	v_cmp_nlt_f32_e32 vcc_lo, 1.0, v9
	s_delay_alu instid0(VALU_DEP_2) | instskip(SKIP_1) | instid1(VALU_DEP_2)
	v_cndmask_b32_e32 v0, 0x7fc00000, v0, vcc_lo
	v_cmp_neq_f32_e32 vcc_lo, 1.0, v9
	v_cndmask_b32_e32 v6, 0xff800000, v0, vcc_lo
	v_xor3_b32 v0, v2, v5, v18
	v_xor3_b32 v2, v4, v7, v19
	s_delay_alu instid0(VALU_DEP_3)
	v_cndmask_b32_e64 v39, v6, -v9, s20
	s_branch .LBB15_9
.LBB15_7:                               ;   in Loop: Header=BB15_9 Depth=1
	v_cvt_f32_u32_e32 v1, v3
	s_delay_alu instid0(VALU_DEP_1) | instskip(NEXT) | instid1(VALU_DEP_1)
	v_fmaak_f32 v1, 0x2f800000, v1, 0x2f800000
	v_cmp_gt_f32_e32 vcc_lo, 0x800000, v1
	v_cndmask_b32_e64 v2, 1.0, 0x4f800000, vcc_lo
	s_delay_alu instid0(VALU_DEP_1) | instskip(NEXT) | instid1(VALU_DEP_1)
	v_mul_f32_e32 v1, v1, v2
	v_log_f32_e32 v1, v1
	s_waitcnt_depctr 0xfff
	v_mul_f32_e32 v2, 0x3f317217, v1
	s_delay_alu instid0(VALU_DEP_1) | instskip(NEXT) | instid1(VALU_DEP_1)
	v_fma_f32 v3, 0x3f317217, v1, -v2
	v_fmac_f32_e32 v3, 0x3377d1cf, v1
	s_delay_alu instid0(VALU_DEP_1) | instskip(SKIP_2) | instid1(VALU_DEP_3)
	v_add_f32_e32 v2, v2, v3
	v_cndmask_b32_e64 v3, 0, 0x41b17218, vcc_lo
	v_cmp_gt_f32_e64 vcc_lo, 0x7f800000, |v1|
	v_cndmask_b32_e32 v1, v1, v2, vcc_lo
	s_delay_alu instid0(VALU_DEP_1) | instskip(NEXT) | instid1(VALU_DEP_1)
	v_sub_f32_e32 v1, v1, v3
	v_div_scale_f32 v2, null, v39, v39, v1
	v_div_scale_f32 v8, vcc_lo, v1, v39, v1
	s_delay_alu instid0(VALU_DEP_2) | instskip(SKIP_2) | instid1(VALU_DEP_1)
	v_rcp_f32_e32 v3, v2
	s_waitcnt_depctr 0xfff
	v_fma_f32 v7, -v2, v3, 1.0
	v_fmac_f32_e32 v3, v7, v3
	s_delay_alu instid0(VALU_DEP_1) | instskip(NEXT) | instid1(VALU_DEP_1)
	v_mul_f32_e32 v7, v8, v3
	v_fma_f32 v9, -v2, v7, v8
	s_delay_alu instid0(VALU_DEP_1) | instskip(NEXT) | instid1(VALU_DEP_1)
	v_fmac_f32_e32 v7, v9, v3
	v_fma_f32 v2, -v2, v7, v8
	s_delay_alu instid0(VALU_DEP_1) | instskip(NEXT) | instid1(VALU_DEP_1)
	v_div_fmas_f32 v2, v2, v3, v7
	v_div_fixup_f32 v1, v2, v39, v1
	s_delay_alu instid0(VALU_DEP_1) | instskip(NEXT) | instid1(VALU_DEP_1)
	v_ceil_f32_e32 v1, v1
	v_mul_f32_e64 v2, 0x2f800000, |v1|
	v_ashrrev_i32_e32 v7, 31, v1
	s_delay_alu instid0(VALU_DEP_2) | instskip(NEXT) | instid1(VALU_DEP_1)
	v_floor_f32_e32 v2, v2
	v_fma_f32 v3, 0xcf800000, v2, |v1|
	v_cvt_u32_f32_e32 v2, v2
	s_delay_alu instid0(VALU_DEP_2) | instskip(NEXT) | instid1(VALU_DEP_2)
	v_cvt_u32_f32_e32 v1, v3
	v_xor_b32_e32 v2, v2, v7
	s_delay_alu instid0(VALU_DEP_2) | instskip(NEXT) | instid1(VALU_DEP_1)
	v_xor_b32_e32 v1, v1, v7
	v_sub_co_u32 v1, vcc_lo, v1, v7
	s_delay_alu instid0(VALU_DEP_3)
	v_sub_co_ci_u32_e32 v2, vcc_lo, v2, v7, vcc_lo
	global_store_b64 v0, v[1:2], s[12:13]
.LBB15_8:                               ;   in Loop: Header=BB15_9 Depth=1
	s_or_b32 exec_lo, exec_lo, s35
	v_add_co_u32 v13, vcc_lo, v13, s25
	v_add_co_ci_u32_e32 v14, vcc_lo, 0, v14, vcc_lo
	v_mov_b32_e32 v7, v15
	v_dual_mov_b32 v0, v4 :: v_dual_mov_b32 v1, v5
	s_delay_alu instid0(VALU_DEP_3) | instskip(NEXT) | instid1(VALU_DEP_3)
	v_cmp_le_i64_e32 vcc_lo, s[2:3], v[13:14]
	v_dual_mov_b32 v2, v6 :: v_dual_mov_b32 v3, v7
	s_waitcnt lgkmcnt(0)
	s_waitcnt_vscnt null, 0x0
	s_barrier
	buffer_gl0_inv
	s_or_b32 s26, vcc_lo, s26
	s_delay_alu instid0(SALU_CYCLE_1)
	s_and_not1_b32 exec_lo, exec_lo, s26
	s_cbranch_execz .LBB15_78
.LBB15_9:                               ; =>This Loop Header: Depth=1
                                        ;     Child Loop BB15_24 Depth 2
                                        ;     Child Loop BB15_29 Depth 2
	;; [unrolled: 1-line block ×8, first 2 shown]
	v_add_co_u32 v24, vcc_lo, v24, 1
	s_delay_alu instid0(VALU_DEP_1) | instskip(SKIP_2) | instid1(VALU_DEP_1)
	v_cndmask_b32_e64 v4, 0, 1, vcc_lo
	v_add_co_ci_u32_e32 v25, vcc_lo, 0, v25, vcc_lo
	s_mov_b32 s20, exec_lo
	v_cmp_eq_u32_e32 vcc_lo, 0, v25
	s_delay_alu instid0(VALU_DEP_3) | instskip(NEXT) | instid1(VALU_DEP_1)
	v_cndmask_b32_e32 v4, 0, v4, vcc_lo
	v_add_nc_u32_e32 v31, v4, v31
	s_delay_alu instid0(VALU_DEP_1) | instskip(SKIP_2) | instid1(VALU_DEP_2)
	v_cmp_eq_u32_e32 vcc_lo, 0, v31
	v_cndmask_b32_e32 v4, 0, v4, vcc_lo
	v_mad_u64_u32 v[6:7], null, 0xcd9e8d57, v31, 0
	v_add_nc_u32_e32 v40, v4, v40
	v_mad_u64_u32 v[4:5], null, 0xd2511f53, v24, 0
	s_delay_alu instid0(VALU_DEP_3) | instskip(NEXT) | instid1(VALU_DEP_2)
	v_xor3_b32 v9, v7, v11, v25
	v_xor_b32_e32 v5, v5, v12
	s_delay_alu instid0(VALU_DEP_2) | instskip(NEXT) | instid1(VALU_DEP_2)
	v_mad_u64_u32 v[7:8], null, 0xd2511f53, v9, 0
	v_xor_b32_e32 v5, v40, v5
	s_delay_alu instid0(VALU_DEP_2) | instskip(NEXT) | instid1(VALU_DEP_2)
	v_xor3_b32 v8, v29, v8, v4
	v_mad_u64_u32 v[9:10], null, 0xcd9e8d57, v5, 0
	s_delay_alu instid0(VALU_DEP_2) | instskip(NEXT) | instid1(VALU_DEP_2)
	v_mad_u64_u32 v[4:5], null, 0xcd9e8d57, v8, 0
	v_xor3_b32 v6, v23, v10, v6
	s_delay_alu instid0(VALU_DEP_2) | instskip(NEXT) | instid1(VALU_DEP_2)
	v_xor3_b32 v8, v26, v5, v9
	v_mad_u64_u32 v[15:16], null, 0xd2511f53, v6, 0
	s_delay_alu instid0(VALU_DEP_2) | instskip(NEXT) | instid1(VALU_DEP_2)
	v_mad_u64_u32 v[5:6], null, 0xd2511f53, v8, 0
	v_xor3_b32 v9, v32, v16, v7
	s_delay_alu instid0(VALU_DEP_2) | instskip(NEXT) | instid1(VALU_DEP_2)
	v_xor3_b32 v6, v34, v6, v15
	v_mad_u64_u32 v[7:8], null, 0xcd9e8d57, v9, 0
	s_delay_alu instid0(VALU_DEP_1) | instskip(NEXT) | instid1(VALU_DEP_3)
	v_xor3_b32 v4, v22, v8, v4
	v_mad_u64_u32 v[8:9], null, 0xcd9e8d57, v6, 0
	s_delay_alu instid0(VALU_DEP_2) | instskip(NEXT) | instid1(VALU_DEP_2)
	v_mad_u64_u32 v[15:16], null, 0xd2511f53, v4, 0
	v_xor3_b32 v6, v27, v9, v7
	s_delay_alu instid0(VALU_DEP_2) | instskip(NEXT) | instid1(VALU_DEP_2)
	v_xor3_b32 v9, v36, v16, v5
	v_mad_u64_u32 v[4:5], null, 0xd2511f53, v6, 0
	s_delay_alu instid0(VALU_DEP_2) | instskip(NEXT) | instid1(VALU_DEP_2)
	v_mad_u64_u32 v[6:7], null, 0xcd9e8d57, v9, 0
	v_xor3_b32 v5, v37, v5, v15
	s_delay_alu instid0(VALU_DEP_2) | instskip(NEXT) | instid1(VALU_DEP_2)
	v_xor3_b32 v15, v21, v7, v8
	v_mad_u64_u32 v[7:8], null, 0xcd9e8d57, v5, 0
	s_delay_alu instid0(VALU_DEP_2) | instskip(NEXT) | instid1(VALU_DEP_2)
	v_mad_u64_u32 v[9:10], null, 0xd2511f53, v15, 0
	v_xor3_b32 v6, v28, v8, v6
	s_delay_alu instid0(VALU_DEP_2) | instskip(NEXT) | instid1(VALU_DEP_2)
	v_xor3_b32 v8, v35, v10, v4
	v_mad_u64_u32 v[4:5], null, 0xd2511f53, v6, 0
	s_delay_alu instid0(VALU_DEP_2) | instskip(NEXT) | instid1(VALU_DEP_2)
	v_mad_u64_u32 v[15:16], null, 0xcd9e8d57, v8, 0
	v_xor3_b32 v5, v38, v5, v9
	s_delay_alu instid0(VALU_DEP_2) | instskip(NEXT) | instid1(VALU_DEP_2)
	v_xor3_b32 v6, v20, v16, v7
	v_mad_u64_u32 v[7:8], null, 0xcd9e8d57, v5, 0
	s_delay_alu instid0(VALU_DEP_2) | instskip(NEXT) | instid1(VALU_DEP_2)
	v_mad_u64_u32 v[9:10], null, 0xd2511f53, v6, 0
	v_xor3_b32 v5, v30, v8, v15
	s_delay_alu instid0(VALU_DEP_2) | instskip(NEXT) | instid1(VALU_DEP_2)
	v_xor3_b32 v4, v33, v10, v4
	v_mad_u64_u32 v[15:16], null, 0xd2511f53, v5, 0
	s_delay_alu instid0(VALU_DEP_2) | instskip(NEXT) | instid1(VALU_DEP_2)
	v_mad_u64_u32 v[5:6], null, 0xcd9e8d57, v4, 0
	v_xor3_b32 v10, v16, v9, v19
	s_delay_alu instid0(VALU_DEP_2) | instskip(NEXT) | instid1(VALU_DEP_2)
	v_xor3_b32 v4, v6, v7, v18
	v_mov_b32_e32 v6, v10
	v_cmpx_lt_i32_e32 1, v17
	s_xor_b32 s20, exec_lo, s20
	s_cbranch_execnz .LBB15_12
; %bb.10:                               ;   in Loop: Header=BB15_9 Depth=1
	s_and_not1_saveexec_b32 s20, s20
	s_cbranch_execnz .LBB15_17
.LBB15_11:                              ;   in Loop: Header=BB15_9 Depth=1
	s_or_b32 exec_lo, exec_lo, s20
	s_delay_alu instid0(SALU_CYCLE_1)
	s_mov_b32 s35, exec_lo
	v_cmpx_gt_i64_e64 s[16:17], v[13:14]
	s_cbranch_execnz .LBB15_20
	s_branch .LBB15_34
.LBB15_12:                              ;   in Loop: Header=BB15_9 Depth=1
	s_mov_b32 s21, exec_lo
	v_cmpx_lt_i32_e32 2, v17
	s_xor_b32 s21, exec_lo, s21
; %bb.13:                               ;   in Loop: Header=BB15_9 Depth=1
	v_dual_mov_b32 v7, v3 :: v_dual_mov_b32 v8, v4
	v_mov_b32_e32 v9, v5
	s_delay_alu instid0(VALU_DEP_2) | instskip(NEXT) | instid1(VALU_DEP_2)
	v_dual_mov_b32 v0, v7 :: v_dual_mov_b32 v1, v8
	v_dual_mov_b32 v2, v9 :: v_dual_mov_b32 v3, v10
; %bb.14:                               ;   in Loop: Header=BB15_9 Depth=1
	s_and_not1_saveexec_b32 s21, s21
; %bb.15:                               ;   in Loop: Header=BB15_9 Depth=1
	s_delay_alu instid0(VALU_DEP_1)
	v_dual_mov_b32 v0, v2 :: v_dual_mov_b32 v1, v3
	v_dual_mov_b32 v2, v4 :: v_dual_mov_b32 v3, v5
; %bb.16:                               ;   in Loop: Header=BB15_9 Depth=1
	s_or_b32 exec_lo, exec_lo, s21
	s_and_not1_saveexec_b32 s20, s20
	s_cbranch_execz .LBB15_11
.LBB15_17:                              ;   in Loop: Header=BB15_9 Depth=1
	s_mov_b32 s21, exec_lo
	v_cmpx_eq_u32_e32 1, v17
; %bb.18:                               ;   in Loop: Header=BB15_9 Depth=1
	v_dual_mov_b32 v0, v1 :: v_dual_mov_b32 v1, v2
	v_dual_mov_b32 v2, v3 :: v_dual_mov_b32 v3, v4
; %bb.19:                               ;   in Loop: Header=BB15_9 Depth=1
	s_or_b32 exec_lo, exec_lo, s21
	s_delay_alu instid0(SALU_CYCLE_1) | instskip(NEXT) | instid1(SALU_CYCLE_1)
	s_or_b32 exec_lo, exec_lo, s20
	s_mov_b32 s35, exec_lo
	v_cmpx_gt_i64_e64 s[16:17], v[13:14]
	s_cbranch_execz .LBB15_34
.LBB15_20:                              ;   in Loop: Header=BB15_9 Depth=1
	s_and_not1_b32 vcc_lo, exec_lo, s11
	s_cbranch_vccnz .LBB15_26
; %bb.21:                               ;   in Loop: Header=BB15_9 Depth=1
	v_mov_b32_e32 v7, 0
	s_and_not1_b32 vcc_lo, exec_lo, s27
	s_cbranch_vccnz .LBB15_30
; %bb.22:                               ;   in Loop: Header=BB15_9 Depth=1
	s_and_not1_b32 vcc_lo, exec_lo, s30
	s_mov_b32 s20, 0
	s_cbranch_vccnz .LBB15_27
; %bb.23:                               ;   in Loop: Header=BB15_9 Depth=1
	v_dual_mov_b32 v7, 0 :: v_dual_mov_b32 v8, v13
	s_mov_b32 s36, 0
	s_mov_b64 s[20:21], s[18:19]
	s_mov_b64 s[22:23], s[0:1]
.LBB15_24:                              ;   Parent Loop BB15_9 Depth=1
                                        ; =>  This Inner Loop Header: Depth=2
	s_clause 0x1
	s_load_b256 s[40:47], s[20:21], 0x4
	s_load_b128 s[48:51], s[20:21], 0x24
	s_load_b128 s[52:55], s[22:23], 0x0
	s_add_u32 s20, s20, 48
	s_addc_u32 s21, s21, 0
	s_add_i32 s36, s36, 4
	s_add_u32 s22, s22, 16
	s_addc_u32 s23, s23, 0
	s_cmp_lg_u32 s31, s36
	s_waitcnt lgkmcnt(0)
	v_mul_hi_u32 v9, s41, v8
	s_delay_alu instid0(VALU_DEP_1) | instskip(NEXT) | instid1(VALU_DEP_1)
	v_add_nc_u32_e32 v9, v8, v9
	v_lshrrev_b32_e32 v9, s42, v9
	s_delay_alu instid0(VALU_DEP_1) | instskip(SKIP_1) | instid1(VALU_DEP_2)
	v_mul_hi_u32 v10, s44, v9
	v_mul_lo_u32 v42, v9, s40
	v_add_nc_u32_e32 v10, v9, v10
	s_delay_alu instid0(VALU_DEP_2) | instskip(NEXT) | instid1(VALU_DEP_2)
	v_sub_nc_u32_e32 v42, v8, v42
	v_lshrrev_b32_e32 v10, s45, v10
	s_delay_alu instid0(VALU_DEP_2) | instskip(NEXT) | instid1(VALU_DEP_2)
	v_mul_lo_u32 v42, v42, s52
	v_mul_hi_u32 v16, s47, v10
	v_mul_lo_u32 v43, v10, s43
	s_delay_alu instid0(VALU_DEP_2) | instskip(NEXT) | instid1(VALU_DEP_2)
	v_add_nc_u32_e32 v16, v10, v16
	v_sub_nc_u32_e32 v9, v9, v43
	s_delay_alu instid0(VALU_DEP_2) | instskip(NEXT) | instid1(VALU_DEP_2)
	v_lshrrev_b32_e32 v16, s48, v16
	v_mul_lo_u32 v9, v9, s53
	s_delay_alu instid0(VALU_DEP_2) | instskip(NEXT) | instid1(VALU_DEP_2)
	v_mul_hi_u32 v41, s50, v16
	v_add3_u32 v7, v42, v7, v9
	s_delay_alu instid0(VALU_DEP_2) | instskip(NEXT) | instid1(VALU_DEP_1)
	v_add_nc_u32_e32 v41, v16, v41
	v_lshrrev_b32_e32 v8, s51, v41
	v_mul_lo_u32 v41, v16, s46
	s_delay_alu instid0(VALU_DEP_2) | instskip(NEXT) | instid1(VALU_DEP_2)
	v_mul_lo_u32 v44, v8, s49
	v_sub_nc_u32_e32 v10, v10, v41
	s_delay_alu instid0(VALU_DEP_2) | instskip(NEXT) | instid1(VALU_DEP_2)
	v_sub_nc_u32_e32 v16, v16, v44
	v_mul_lo_u32 v10, v10, s54
	s_delay_alu instid0(VALU_DEP_2) | instskip(NEXT) | instid1(VALU_DEP_1)
	v_mul_lo_u32 v16, v16, s55
	v_add3_u32 v7, v10, v7, v16
	s_cbranch_scc1 .LBB15_24
; %bb.25:                               ;   in Loop: Header=BB15_9 Depth=1
	s_mov_b32 s20, s31
	s_and_not1_b32 vcc_lo, exec_lo, s34
	s_cbranch_vccz .LBB15_28
	s_branch .LBB15_30
.LBB15_26:                              ;   in Loop: Header=BB15_9 Depth=1
                                        ; implicit-def: $vgpr7
	s_branch .LBB15_31
.LBB15_27:                              ;   in Loop: Header=BB15_9 Depth=1
	v_mov_b32_e32 v8, v13
	s_and_not1_b32 vcc_lo, exec_lo, s34
	s_cbranch_vccnz .LBB15_30
.LBB15_28:                              ;   in Loop: Header=BB15_9 Depth=1
	s_lshl_b32 s21, s20, 2
	s_mul_i32 s22, s20, 12
	s_add_u32 s20, s0, s21
	s_addc_u32 s21, s1, 0
	s_add_u32 s22, s18, s22
	s_addc_u32 s23, s19, 0
	s_mov_b32 s36, s29
	.p2align	6
.LBB15_29:                              ;   Parent Loop BB15_9 Depth=1
                                        ; =>  This Inner Loop Header: Depth=2
	s_clause 0x1
	s_load_b64 s[38:39], s[22:23], 0x4
	s_load_b32 s37, s[22:23], 0xc
	s_add_u32 s22, s22, 12
	s_addc_u32 s23, s23, 0
	s_waitcnt lgkmcnt(0)
	v_mul_hi_u32 v9, s39, v8
	s_load_b32 s39, s[20:21], 0x0
	s_add_u32 s20, s20, 4
	s_addc_u32 s21, s21, 0
	s_add_i32 s36, s36, -1
	s_delay_alu instid0(SALU_CYCLE_1) | instskip(NEXT) | instid1(VALU_DEP_1)
	s_cmp_lg_u32 s36, 0
	v_add_nc_u32_e32 v9, v8, v9
	s_delay_alu instid0(VALU_DEP_1) | instskip(NEXT) | instid1(VALU_DEP_1)
	v_lshrrev_b32_e32 v16, s37, v9
	v_mul_lo_u32 v9, v16, s38
	s_delay_alu instid0(VALU_DEP_1) | instskip(SKIP_1) | instid1(VALU_DEP_1)
	v_sub_nc_u32_e32 v8, v8, v9
	s_waitcnt lgkmcnt(0)
	v_mad_u64_u32 v[9:10], null, v8, s39, v[7:8]
	s_delay_alu instid0(VALU_DEP_1)
	v_dual_mov_b32 v8, v16 :: v_dual_mov_b32 v7, v9
	s_cbranch_scc1 .LBB15_29
.LBB15_30:                              ;   in Loop: Header=BB15_9 Depth=1
	s_cbranch_execnz .LBB15_33
.LBB15_31:                              ;   in Loop: Header=BB15_9 Depth=1
	v_mul_hi_u32 v7, v13, s6
	s_and_not1_b32 vcc_lo, exec_lo, s4
	s_delay_alu instid0(VALU_DEP_1) | instskip(NEXT) | instid1(VALU_DEP_1)
	v_add_nc_u32_e32 v7, v7, v13
	v_lshrrev_b32_e32 v8, s7, v7
	s_delay_alu instid0(VALU_DEP_1) | instskip(NEXT) | instid1(VALU_DEP_1)
	v_mul_lo_u32 v7, v8, s5
	v_sub_nc_u32_e32 v7, v13, v7
	s_waitcnt lgkmcnt(0)
	s_delay_alu instid0(VALU_DEP_1)
	v_mul_lo_u32 v7, v7, s14
	s_cbranch_vccnz .LBB15_33
; %bb.32:                               ;   in Loop: Header=BB15_9 Depth=1
	v_mul_hi_u32 v9, s9, v8
	s_delay_alu instid0(VALU_DEP_1) | instskip(NEXT) | instid1(VALU_DEP_1)
	v_add_nc_u32_e32 v9, v8, v9
	v_lshrrev_b32_e32 v9, s10, v9
	s_delay_alu instid0(VALU_DEP_1) | instskip(NEXT) | instid1(VALU_DEP_1)
	v_mul_lo_u32 v9, v9, s8
	v_sub_nc_u32_e32 v10, v8, v9
	s_delay_alu instid0(VALU_DEP_1) | instskip(NEXT) | instid1(VALU_DEP_1)
	v_mad_u64_u32 v[8:9], null, v10, s15, v[7:8]
	v_mov_b32_e32 v7, v8
.LBB15_33:                              ;   in Loop: Header=BB15_9 Depth=1
	v_cvt_f32_u32_e32 v0, v0
	s_delay_alu instid0(VALU_DEP_1) | instskip(NEXT) | instid1(VALU_DEP_1)
	v_fmaak_f32 v0, 0x2f800000, v0, 0x2f800000
	v_cmp_gt_f32_e32 vcc_lo, 0x800000, v0
	v_cndmask_b32_e64 v8, 1.0, 0x4f800000, vcc_lo
	s_delay_alu instid0(VALU_DEP_1) | instskip(NEXT) | instid1(VALU_DEP_1)
	v_mul_f32_e32 v0, v0, v8
	v_log_f32_e32 v0, v0
	s_waitcnt_depctr 0xfff
	v_mul_f32_e32 v8, 0x3f317217, v0
	s_delay_alu instid0(VALU_DEP_1) | instskip(NEXT) | instid1(VALU_DEP_1)
	v_fma_f32 v9, 0x3f317217, v0, -v8
	v_fmac_f32_e32 v9, 0x3377d1cf, v0
	s_delay_alu instid0(VALU_DEP_1) | instskip(SKIP_2) | instid1(VALU_DEP_3)
	v_add_f32_e32 v8, v8, v9
	v_cndmask_b32_e64 v9, 0, 0x41b17218, vcc_lo
	v_cmp_gt_f32_e64 vcc_lo, 0x7f800000, |v0|
	v_cndmask_b32_e32 v0, v0, v8, vcc_lo
	s_delay_alu instid0(VALU_DEP_1) | instskip(NEXT) | instid1(VALU_DEP_1)
	v_sub_f32_e32 v0, v0, v9
	v_div_scale_f32 v8, null, v39, v39, v0
	v_div_scale_f32 v16, vcc_lo, v0, v39, v0
	s_delay_alu instid0(VALU_DEP_2) | instskip(SKIP_2) | instid1(VALU_DEP_1)
	v_rcp_f32_e32 v9, v8
	s_waitcnt_depctr 0xfff
	v_fma_f32 v10, -v8, v9, 1.0
	v_fmac_f32_e32 v9, v10, v9
	s_delay_alu instid0(VALU_DEP_1) | instskip(NEXT) | instid1(VALU_DEP_1)
	v_mul_f32_e32 v10, v16, v9
	v_fma_f32 v41, -v8, v10, v16
	s_delay_alu instid0(VALU_DEP_1) | instskip(NEXT) | instid1(VALU_DEP_1)
	v_fmac_f32_e32 v10, v41, v9
	v_fma_f32 v8, -v8, v10, v16
	s_delay_alu instid0(VALU_DEP_1) | instskip(NEXT) | instid1(VALU_DEP_1)
	v_div_fmas_f32 v8, v8, v9, v10
	v_div_fixup_f32 v0, v8, v39, v0
	s_delay_alu instid0(VALU_DEP_1) | instskip(NEXT) | instid1(VALU_DEP_1)
	v_ceil_f32_e32 v0, v0
	v_mul_f32_e64 v8, 0x2f800000, |v0|
	s_delay_alu instid0(VALU_DEP_1) | instskip(NEXT) | instid1(VALU_DEP_1)
	v_floor_f32_e32 v8, v8
	v_fma_f32 v9, 0xcf800000, v8, |v0|
	v_ashrrev_i32_e32 v0, 31, v0
	v_cvt_u32_f32_e32 v8, v8
	s_delay_alu instid0(VALU_DEP_3) | instskip(NEXT) | instid1(VALU_DEP_2)
	v_cvt_u32_f32_e32 v9, v9
	v_xor_b32_e32 v10, v8, v0
	s_delay_alu instid0(VALU_DEP_2) | instskip(NEXT) | instid1(VALU_DEP_1)
	v_xor_b32_e32 v9, v9, v0
	v_sub_co_u32 v8, vcc_lo, v9, v0
	s_delay_alu instid0(VALU_DEP_3)
	v_sub_co_ci_u32_e32 v9, vcc_lo, v10, v0, vcc_lo
	global_store_b64 v7, v[8:9], s[12:13]
.LBB15_34:                              ;   in Loop: Header=BB15_9 Depth=1
	s_or_b32 exec_lo, exec_lo, s35
	v_add_co_u32 v7, vcc_lo, v13, s24
	v_add_co_ci_u32_e32 v8, vcc_lo, 0, v14, vcc_lo
	s_mov_b32 s35, exec_lo
	s_delay_alu instid0(VALU_DEP_1)
	v_cmpx_gt_i64_e64 s[16:17], v[7:8]
	s_cbranch_execz .LBB15_49
; %bb.35:                               ;   in Loop: Header=BB15_9 Depth=1
	s_and_not1_b32 vcc_lo, exec_lo, s11
	s_cbranch_vccnz .LBB15_41
; %bb.36:                               ;   in Loop: Header=BB15_9 Depth=1
	v_mov_b32_e32 v0, 0
	s_and_not1_b32 vcc_lo, exec_lo, s27
	s_cbranch_vccnz .LBB15_45
; %bb.37:                               ;   in Loop: Header=BB15_9 Depth=1
	s_and_not1_b32 vcc_lo, exec_lo, s30
	s_mov_b32 s20, 0
	s_cbranch_vccnz .LBB15_42
; %bb.38:                               ;   in Loop: Header=BB15_9 Depth=1
	v_mov_b32_e32 v0, 0
	v_mov_b32_e32 v8, v7
	s_mov_b32 s36, 0
	s_mov_b64 s[20:21], s[18:19]
	s_mov_b64 s[22:23], s[0:1]
.LBB15_39:                              ;   Parent Loop BB15_9 Depth=1
                                        ; =>  This Inner Loop Header: Depth=2
	s_clause 0x1
	s_load_b256 s[40:47], s[20:21], 0x4
	s_load_b128 s[48:51], s[20:21], 0x24
	s_load_b128 s[52:55], s[22:23], 0x0
	s_add_u32 s20, s20, 48
	s_addc_u32 s21, s21, 0
	s_add_i32 s36, s36, 4
	s_add_u32 s22, s22, 16
	s_addc_u32 s23, s23, 0
	s_cmp_eq_u32 s31, s36
	s_waitcnt lgkmcnt(0)
	v_mul_hi_u32 v9, s41, v8
	s_delay_alu instid0(VALU_DEP_1) | instskip(NEXT) | instid1(VALU_DEP_1)
	v_add_nc_u32_e32 v9, v8, v9
	v_lshrrev_b32_e32 v9, s42, v9
	s_delay_alu instid0(VALU_DEP_1) | instskip(SKIP_1) | instid1(VALU_DEP_2)
	v_mul_hi_u32 v10, s44, v9
	v_mul_lo_u32 v42, v9, s40
	v_add_nc_u32_e32 v10, v9, v10
	s_delay_alu instid0(VALU_DEP_2) | instskip(NEXT) | instid1(VALU_DEP_2)
	v_sub_nc_u32_e32 v42, v8, v42
	v_lshrrev_b32_e32 v10, s45, v10
	s_delay_alu instid0(VALU_DEP_2) | instskip(NEXT) | instid1(VALU_DEP_2)
	v_mul_lo_u32 v42, v42, s52
	v_mul_hi_u32 v16, s47, v10
	v_mul_lo_u32 v43, v10, s43
	s_delay_alu instid0(VALU_DEP_2) | instskip(NEXT) | instid1(VALU_DEP_2)
	v_add_nc_u32_e32 v16, v10, v16
	v_sub_nc_u32_e32 v9, v9, v43
	s_delay_alu instid0(VALU_DEP_2) | instskip(NEXT) | instid1(VALU_DEP_2)
	v_lshrrev_b32_e32 v16, s48, v16
	v_mul_lo_u32 v9, v9, s53
	s_delay_alu instid0(VALU_DEP_2) | instskip(NEXT) | instid1(VALU_DEP_2)
	v_mul_hi_u32 v41, s50, v16
	v_add3_u32 v0, v42, v0, v9
	s_delay_alu instid0(VALU_DEP_2) | instskip(NEXT) | instid1(VALU_DEP_1)
	v_add_nc_u32_e32 v41, v16, v41
	v_lshrrev_b32_e32 v8, s51, v41
	v_mul_lo_u32 v41, v16, s46
	s_delay_alu instid0(VALU_DEP_2) | instskip(NEXT) | instid1(VALU_DEP_2)
	v_mul_lo_u32 v44, v8, s49
	v_sub_nc_u32_e32 v10, v10, v41
	s_delay_alu instid0(VALU_DEP_2) | instskip(NEXT) | instid1(VALU_DEP_2)
	v_sub_nc_u32_e32 v16, v16, v44
	v_mul_lo_u32 v10, v10, s54
	s_delay_alu instid0(VALU_DEP_2) | instskip(NEXT) | instid1(VALU_DEP_1)
	v_mul_lo_u32 v16, v16, s55
	v_add3_u32 v0, v10, v0, v16
	s_cbranch_scc0 .LBB15_39
; %bb.40:                               ;   in Loop: Header=BB15_9 Depth=1
	s_mov_b32 s20, s31
	s_and_not1_b32 vcc_lo, exec_lo, s34
	s_cbranch_vccz .LBB15_43
	s_branch .LBB15_45
.LBB15_41:                              ;   in Loop: Header=BB15_9 Depth=1
                                        ; implicit-def: $vgpr0
	s_branch .LBB15_46
.LBB15_42:                              ;   in Loop: Header=BB15_9 Depth=1
	v_mov_b32_e32 v8, v7
	s_and_not1_b32 vcc_lo, exec_lo, s34
	s_cbranch_vccnz .LBB15_45
.LBB15_43:                              ;   in Loop: Header=BB15_9 Depth=1
	s_lshl_b32 s21, s20, 2
	s_mul_i32 s22, s20, 12
	s_add_u32 s20, s0, s21
	s_addc_u32 s21, s1, 0
	s_add_u32 s22, s18, s22
	s_addc_u32 s23, s19, 0
	s_mov_b32 s36, s29
	.p2align	6
.LBB15_44:                              ;   Parent Loop BB15_9 Depth=1
                                        ; =>  This Inner Loop Header: Depth=2
	s_clause 0x1
	s_load_b64 s[38:39], s[22:23], 0x4
	s_load_b32 s37, s[22:23], 0xc
	s_add_u32 s22, s22, 12
	s_addc_u32 s23, s23, 0
	s_waitcnt lgkmcnt(0)
	v_mul_hi_u32 v9, s39, v8
	s_load_b32 s39, s[20:21], 0x0
	s_add_u32 s20, s20, 4
	s_addc_u32 s21, s21, 0
	s_add_i32 s36, s36, -1
	s_delay_alu instid0(SALU_CYCLE_1) | instskip(NEXT) | instid1(VALU_DEP_1)
	s_cmp_lg_u32 s36, 0
	v_add_nc_u32_e32 v9, v8, v9
	s_delay_alu instid0(VALU_DEP_1) | instskip(NEXT) | instid1(VALU_DEP_1)
	v_lshrrev_b32_e32 v16, s37, v9
	v_mul_lo_u32 v9, v16, s38
	s_delay_alu instid0(VALU_DEP_1) | instskip(SKIP_1) | instid1(VALU_DEP_1)
	v_sub_nc_u32_e32 v8, v8, v9
	s_waitcnt lgkmcnt(0)
	v_mad_u64_u32 v[9:10], null, v8, s39, v[0:1]
	v_mov_b32_e32 v8, v16
	s_delay_alu instid0(VALU_DEP_2)
	v_mov_b32_e32 v0, v9
	s_cbranch_scc1 .LBB15_44
.LBB15_45:                              ;   in Loop: Header=BB15_9 Depth=1
	s_cbranch_execnz .LBB15_48
.LBB15_46:                              ;   in Loop: Header=BB15_9 Depth=1
	v_mul_hi_u32 v0, v7, s6
	s_and_not1_b32 vcc_lo, exec_lo, s4
	s_delay_alu instid0(VALU_DEP_1) | instskip(NEXT) | instid1(VALU_DEP_1)
	v_add_nc_u32_e32 v0, v0, v7
	v_lshrrev_b32_e32 v8, s7, v0
	s_delay_alu instid0(VALU_DEP_1) | instskip(NEXT) | instid1(VALU_DEP_1)
	v_mul_lo_u32 v0, v8, s5
	v_sub_nc_u32_e32 v0, v7, v0
	s_waitcnt lgkmcnt(0)
	s_delay_alu instid0(VALU_DEP_1)
	v_mul_lo_u32 v0, v0, s14
	s_cbranch_vccnz .LBB15_48
; %bb.47:                               ;   in Loop: Header=BB15_9 Depth=1
	v_mul_hi_u32 v7, s9, v8
	s_delay_alu instid0(VALU_DEP_1) | instskip(NEXT) | instid1(VALU_DEP_1)
	v_add_nc_u32_e32 v7, v8, v7
	v_lshrrev_b32_e32 v7, s10, v7
	s_delay_alu instid0(VALU_DEP_1) | instskip(NEXT) | instid1(VALU_DEP_1)
	v_mul_lo_u32 v7, v7, s8
	v_sub_nc_u32_e32 v9, v8, v7
	s_delay_alu instid0(VALU_DEP_1) | instskip(NEXT) | instid1(VALU_DEP_1)
	v_mad_u64_u32 v[7:8], null, v9, s15, v[0:1]
	v_mov_b32_e32 v0, v7
.LBB15_48:                              ;   in Loop: Header=BB15_9 Depth=1
	v_cvt_f32_u32_e32 v1, v1
	s_delay_alu instid0(VALU_DEP_1) | instskip(NEXT) | instid1(VALU_DEP_1)
	v_fmaak_f32 v1, 0x2f800000, v1, 0x2f800000
	v_cmp_gt_f32_e32 vcc_lo, 0x800000, v1
	v_cndmask_b32_e64 v7, 1.0, 0x4f800000, vcc_lo
	s_delay_alu instid0(VALU_DEP_1) | instskip(NEXT) | instid1(VALU_DEP_1)
	v_mul_f32_e32 v1, v1, v7
	v_log_f32_e32 v1, v1
	s_waitcnt_depctr 0xfff
	v_mul_f32_e32 v7, 0x3f317217, v1
	s_delay_alu instid0(VALU_DEP_1) | instskip(NEXT) | instid1(VALU_DEP_1)
	v_fma_f32 v8, 0x3f317217, v1, -v7
	v_fmac_f32_e32 v8, 0x3377d1cf, v1
	s_delay_alu instid0(VALU_DEP_1) | instskip(SKIP_2) | instid1(VALU_DEP_3)
	v_add_f32_e32 v7, v7, v8
	v_cndmask_b32_e64 v8, 0, 0x41b17218, vcc_lo
	v_cmp_gt_f32_e64 vcc_lo, 0x7f800000, |v1|
	v_cndmask_b32_e32 v1, v1, v7, vcc_lo
	s_delay_alu instid0(VALU_DEP_1) | instskip(NEXT) | instid1(VALU_DEP_1)
	v_sub_f32_e32 v1, v1, v8
	v_div_scale_f32 v7, null, v39, v39, v1
	v_div_scale_f32 v10, vcc_lo, v1, v39, v1
	s_delay_alu instid0(VALU_DEP_2) | instskip(SKIP_2) | instid1(VALU_DEP_1)
	v_rcp_f32_e32 v8, v7
	s_waitcnt_depctr 0xfff
	v_fma_f32 v9, -v7, v8, 1.0
	v_fmac_f32_e32 v8, v9, v8
	s_delay_alu instid0(VALU_DEP_1) | instskip(NEXT) | instid1(VALU_DEP_1)
	v_mul_f32_e32 v9, v10, v8
	v_fma_f32 v16, -v7, v9, v10
	s_delay_alu instid0(VALU_DEP_1) | instskip(NEXT) | instid1(VALU_DEP_1)
	v_fmac_f32_e32 v9, v16, v8
	v_fma_f32 v7, -v7, v9, v10
	s_delay_alu instid0(VALU_DEP_1) | instskip(NEXT) | instid1(VALU_DEP_1)
	v_div_fmas_f32 v7, v7, v8, v9
	v_div_fixup_f32 v1, v7, v39, v1
	s_delay_alu instid0(VALU_DEP_1) | instskip(NEXT) | instid1(VALU_DEP_1)
	v_ceil_f32_e32 v1, v1
	v_mul_f32_e64 v7, 0x2f800000, |v1|
	s_delay_alu instid0(VALU_DEP_1) | instskip(NEXT) | instid1(VALU_DEP_1)
	v_floor_f32_e32 v7, v7
	v_fma_f32 v8, 0xcf800000, v7, |v1|
	v_ashrrev_i32_e32 v1, 31, v1
	v_cvt_u32_f32_e32 v7, v7
	s_delay_alu instid0(VALU_DEP_3) | instskip(NEXT) | instid1(VALU_DEP_2)
	v_cvt_u32_f32_e32 v8, v8
	v_xor_b32_e32 v9, v7, v1
	s_delay_alu instid0(VALU_DEP_2) | instskip(NEXT) | instid1(VALU_DEP_1)
	v_xor_b32_e32 v8, v8, v1
	v_sub_co_u32 v7, vcc_lo, v8, v1
	s_delay_alu instid0(VALU_DEP_3)
	v_sub_co_ci_u32_e32 v8, vcc_lo, v9, v1, vcc_lo
	global_store_b64 v0, v[7:8], s[12:13]
.LBB15_49:                              ;   in Loop: Header=BB15_9 Depth=1
	s_or_b32 exec_lo, exec_lo, s35
	v_add_co_u32 v7, vcc_lo, v13, s28
	v_add_co_ci_u32_e32 v8, vcc_lo, 0, v14, vcc_lo
	s_mov_b32 s35, exec_lo
	s_delay_alu instid0(VALU_DEP_1)
	v_cmpx_gt_i64_e64 s[16:17], v[7:8]
	s_cbranch_execz .LBB15_64
; %bb.50:                               ;   in Loop: Header=BB15_9 Depth=1
	s_and_not1_b32 vcc_lo, exec_lo, s11
	s_cbranch_vccnz .LBB15_56
; %bb.51:                               ;   in Loop: Header=BB15_9 Depth=1
	v_mov_b32_e32 v0, 0
	s_and_not1_b32 vcc_lo, exec_lo, s27
	s_cbranch_vccnz .LBB15_60
; %bb.52:                               ;   in Loop: Header=BB15_9 Depth=1
	s_and_not1_b32 vcc_lo, exec_lo, s30
	s_mov_b32 s20, 0
	s_cbranch_vccnz .LBB15_57
; %bb.53:                               ;   in Loop: Header=BB15_9 Depth=1
	v_dual_mov_b32 v0, 0 :: v_dual_mov_b32 v1, v7
	s_mov_b32 s36, 0
	s_mov_b64 s[20:21], s[18:19]
	s_mov_b64 s[22:23], s[0:1]
.LBB15_54:                              ;   Parent Loop BB15_9 Depth=1
                                        ; =>  This Inner Loop Header: Depth=2
	s_clause 0x1
	s_load_b256 s[40:47], s[20:21], 0x4
	s_load_b128 s[48:51], s[20:21], 0x24
	s_load_b128 s[52:55], s[22:23], 0x0
	s_add_u32 s20, s20, 48
	s_addc_u32 s21, s21, 0
	s_add_i32 s36, s36, 4
	s_add_u32 s22, s22, 16
	s_addc_u32 s23, s23, 0
	s_cmp_eq_u32 s31, s36
	s_waitcnt lgkmcnt(0)
	v_mul_hi_u32 v8, s41, v1
	s_delay_alu instid0(VALU_DEP_1) | instskip(NEXT) | instid1(VALU_DEP_1)
	v_add_nc_u32_e32 v8, v1, v8
	v_lshrrev_b32_e32 v8, s42, v8
	s_delay_alu instid0(VALU_DEP_1) | instskip(SKIP_1) | instid1(VALU_DEP_2)
	v_mul_hi_u32 v9, s44, v8
	v_mul_lo_u32 v41, v8, s40
	v_add_nc_u32_e32 v9, v8, v9
	s_delay_alu instid0(VALU_DEP_2) | instskip(NEXT) | instid1(VALU_DEP_2)
	v_sub_nc_u32_e32 v41, v1, v41
	v_lshrrev_b32_e32 v9, s45, v9
	s_delay_alu instid0(VALU_DEP_2) | instskip(NEXT) | instid1(VALU_DEP_2)
	v_mul_lo_u32 v41, v41, s52
	v_mul_hi_u32 v10, s47, v9
	v_mul_lo_u32 v42, v9, s43
	s_delay_alu instid0(VALU_DEP_2) | instskip(NEXT) | instid1(VALU_DEP_2)
	v_add_nc_u32_e32 v10, v9, v10
	v_sub_nc_u32_e32 v8, v8, v42
	s_delay_alu instid0(VALU_DEP_2) | instskip(NEXT) | instid1(VALU_DEP_2)
	v_lshrrev_b32_e32 v10, s48, v10
	v_mul_lo_u32 v8, v8, s53
	s_delay_alu instid0(VALU_DEP_2) | instskip(NEXT) | instid1(VALU_DEP_2)
	v_mul_hi_u32 v16, s50, v10
	v_add3_u32 v0, v41, v0, v8
	s_delay_alu instid0(VALU_DEP_2) | instskip(NEXT) | instid1(VALU_DEP_1)
	v_add_nc_u32_e32 v16, v10, v16
	v_lshrrev_b32_e32 v1, s51, v16
	v_mul_lo_u32 v16, v10, s46
	s_delay_alu instid0(VALU_DEP_2) | instskip(NEXT) | instid1(VALU_DEP_2)
	v_mul_lo_u32 v43, v1, s49
	v_sub_nc_u32_e32 v9, v9, v16
	s_delay_alu instid0(VALU_DEP_2) | instskip(NEXT) | instid1(VALU_DEP_2)
	v_sub_nc_u32_e32 v10, v10, v43
	v_mul_lo_u32 v9, v9, s54
	s_delay_alu instid0(VALU_DEP_2) | instskip(NEXT) | instid1(VALU_DEP_1)
	v_mul_lo_u32 v10, v10, s55
	v_add3_u32 v0, v9, v0, v10
	s_cbranch_scc0 .LBB15_54
; %bb.55:                               ;   in Loop: Header=BB15_9 Depth=1
	s_mov_b32 s20, s31
	s_and_not1_b32 vcc_lo, exec_lo, s34
	s_cbranch_vccz .LBB15_58
	s_branch .LBB15_60
.LBB15_56:                              ;   in Loop: Header=BB15_9 Depth=1
                                        ; implicit-def: $vgpr0
	s_branch .LBB15_61
.LBB15_57:                              ;   in Loop: Header=BB15_9 Depth=1
	v_mov_b32_e32 v1, v7
	s_and_not1_b32 vcc_lo, exec_lo, s34
	s_cbranch_vccnz .LBB15_60
.LBB15_58:                              ;   in Loop: Header=BB15_9 Depth=1
	s_lshl_b32 s21, s20, 2
	s_mul_i32 s22, s20, 12
	s_add_u32 s20, s0, s21
	s_addc_u32 s21, s1, 0
	s_add_u32 s22, s18, s22
	s_addc_u32 s23, s19, 0
	s_mov_b32 s36, s29
	.p2align	6
.LBB15_59:                              ;   Parent Loop BB15_9 Depth=1
                                        ; =>  This Inner Loop Header: Depth=2
	s_clause 0x1
	s_load_b64 s[38:39], s[22:23], 0x4
	s_load_b32 s37, s[22:23], 0xc
	s_add_u32 s22, s22, 12
	s_addc_u32 s23, s23, 0
	s_waitcnt lgkmcnt(0)
	v_mul_hi_u32 v8, s39, v1
	s_load_b32 s39, s[20:21], 0x0
	s_add_u32 s20, s20, 4
	s_addc_u32 s21, s21, 0
	s_add_i32 s36, s36, -1
	s_delay_alu instid0(SALU_CYCLE_1) | instskip(NEXT) | instid1(VALU_DEP_1)
	s_cmp_lg_u32 s36, 0
	v_add_nc_u32_e32 v8, v1, v8
	s_delay_alu instid0(VALU_DEP_1) | instskip(NEXT) | instid1(VALU_DEP_1)
	v_lshrrev_b32_e32 v10, s37, v8
	v_mul_lo_u32 v8, v10, s38
	s_delay_alu instid0(VALU_DEP_1) | instskip(SKIP_1) | instid1(VALU_DEP_1)
	v_sub_nc_u32_e32 v1, v1, v8
	s_waitcnt lgkmcnt(0)
	v_mad_u64_u32 v[8:9], null, v1, s39, v[0:1]
	s_delay_alu instid0(VALU_DEP_1)
	v_dual_mov_b32 v1, v10 :: v_dual_mov_b32 v0, v8
	s_cbranch_scc1 .LBB15_59
.LBB15_60:                              ;   in Loop: Header=BB15_9 Depth=1
	s_cbranch_execnz .LBB15_63
.LBB15_61:                              ;   in Loop: Header=BB15_9 Depth=1
	v_mul_hi_u32 v0, v7, s6
	s_and_not1_b32 vcc_lo, exec_lo, s4
	s_delay_alu instid0(VALU_DEP_1) | instskip(NEXT) | instid1(VALU_DEP_1)
	v_add_nc_u32_e32 v0, v0, v7
	v_lshrrev_b32_e32 v1, s7, v0
	s_delay_alu instid0(VALU_DEP_1) | instskip(NEXT) | instid1(VALU_DEP_1)
	v_mul_lo_u32 v0, v1, s5
	v_sub_nc_u32_e32 v0, v7, v0
	s_waitcnt lgkmcnt(0)
	s_delay_alu instid0(VALU_DEP_1)
	v_mul_lo_u32 v0, v0, s14
	s_cbranch_vccnz .LBB15_63
; %bb.62:                               ;   in Loop: Header=BB15_9 Depth=1
	v_mul_hi_u32 v7, s9, v1
	s_delay_alu instid0(VALU_DEP_1) | instskip(NEXT) | instid1(VALU_DEP_1)
	v_add_nc_u32_e32 v7, v1, v7
	v_lshrrev_b32_e32 v7, s10, v7
	s_delay_alu instid0(VALU_DEP_1) | instskip(NEXT) | instid1(VALU_DEP_1)
	v_mul_lo_u32 v7, v7, s8
	v_sub_nc_u32_e32 v1, v1, v7
	s_delay_alu instid0(VALU_DEP_1) | instskip(NEXT) | instid1(VALU_DEP_1)
	v_mad_u64_u32 v[7:8], null, v1, s15, v[0:1]
	v_mov_b32_e32 v0, v7
.LBB15_63:                              ;   in Loop: Header=BB15_9 Depth=1
	v_cvt_f32_u32_e32 v1, v2
	s_delay_alu instid0(VALU_DEP_1) | instskip(NEXT) | instid1(VALU_DEP_1)
	v_fmaak_f32 v1, 0x2f800000, v1, 0x2f800000
	v_cmp_gt_f32_e32 vcc_lo, 0x800000, v1
	v_cndmask_b32_e64 v2, 1.0, 0x4f800000, vcc_lo
	s_delay_alu instid0(VALU_DEP_1) | instskip(NEXT) | instid1(VALU_DEP_1)
	v_mul_f32_e32 v1, v1, v2
	v_log_f32_e32 v1, v1
	s_waitcnt_depctr 0xfff
	v_mul_f32_e32 v2, 0x3f317217, v1
	s_delay_alu instid0(VALU_DEP_1) | instskip(NEXT) | instid1(VALU_DEP_1)
	v_fma_f32 v7, 0x3f317217, v1, -v2
	v_fmac_f32_e32 v7, 0x3377d1cf, v1
	s_delay_alu instid0(VALU_DEP_1) | instskip(SKIP_2) | instid1(VALU_DEP_3)
	v_add_f32_e32 v2, v2, v7
	v_cndmask_b32_e64 v7, 0, 0x41b17218, vcc_lo
	v_cmp_gt_f32_e64 vcc_lo, 0x7f800000, |v1|
	v_cndmask_b32_e32 v1, v1, v2, vcc_lo
	s_delay_alu instid0(VALU_DEP_1) | instskip(NEXT) | instid1(VALU_DEP_1)
	v_sub_f32_e32 v1, v1, v7
	v_div_scale_f32 v2, null, v39, v39, v1
	v_div_scale_f32 v9, vcc_lo, v1, v39, v1
	s_delay_alu instid0(VALU_DEP_2) | instskip(SKIP_2) | instid1(VALU_DEP_1)
	v_rcp_f32_e32 v7, v2
	s_waitcnt_depctr 0xfff
	v_fma_f32 v8, -v2, v7, 1.0
	v_fmac_f32_e32 v7, v8, v7
	s_delay_alu instid0(VALU_DEP_1) | instskip(NEXT) | instid1(VALU_DEP_1)
	v_mul_f32_e32 v8, v9, v7
	v_fma_f32 v10, -v2, v8, v9
	s_delay_alu instid0(VALU_DEP_1) | instskip(NEXT) | instid1(VALU_DEP_1)
	v_fmac_f32_e32 v8, v10, v7
	v_fma_f32 v2, -v2, v8, v9
	s_delay_alu instid0(VALU_DEP_1) | instskip(NEXT) | instid1(VALU_DEP_1)
	v_div_fmas_f32 v2, v2, v7, v8
	v_div_fixup_f32 v1, v2, v39, v1
	s_delay_alu instid0(VALU_DEP_1) | instskip(NEXT) | instid1(VALU_DEP_1)
	v_ceil_f32_e32 v1, v1
	v_mul_f32_e64 v2, 0x2f800000, |v1|
	v_ashrrev_i32_e32 v8, 31, v1
	s_delay_alu instid0(VALU_DEP_2) | instskip(NEXT) | instid1(VALU_DEP_1)
	v_floor_f32_e32 v2, v2
	v_fma_f32 v7, 0xcf800000, v2, |v1|
	v_cvt_u32_f32_e32 v2, v2
	s_delay_alu instid0(VALU_DEP_2) | instskip(NEXT) | instid1(VALU_DEP_2)
	v_cvt_u32_f32_e32 v1, v7
	v_xor_b32_e32 v2, v2, v8
	s_delay_alu instid0(VALU_DEP_2) | instskip(NEXT) | instid1(VALU_DEP_1)
	v_xor_b32_e32 v1, v1, v8
	v_sub_co_u32 v1, vcc_lo, v1, v8
	s_delay_alu instid0(VALU_DEP_3)
	v_sub_co_ci_u32_e32 v2, vcc_lo, v2, v8, vcc_lo
	global_store_b64 v0, v[1:2], s[12:13]
.LBB15_64:                              ;   in Loop: Header=BB15_9 Depth=1
	s_or_b32 exec_lo, exec_lo, s35
	v_add_co_u32 v1, vcc_lo, v13, s33
	v_add_co_ci_u32_e32 v2, vcc_lo, 0, v14, vcc_lo
	s_mov_b32 s35, exec_lo
	s_delay_alu instid0(VALU_DEP_1)
	v_cmpx_gt_i64_e64 s[16:17], v[1:2]
	s_cbranch_execz .LBB15_8
; %bb.65:                               ;   in Loop: Header=BB15_9 Depth=1
	s_and_not1_b32 vcc_lo, exec_lo, s11
	s_cbranch_vccnz .LBB15_71
; %bb.66:                               ;   in Loop: Header=BB15_9 Depth=1
	v_mov_b32_e32 v0, 0
	s_and_not1_b32 vcc_lo, exec_lo, s27
	s_cbranch_vccnz .LBB15_75
; %bb.67:                               ;   in Loop: Header=BB15_9 Depth=1
	s_and_not1_b32 vcc_lo, exec_lo, s30
	s_mov_b32 s20, 0
	s_cbranch_vccnz .LBB15_72
; %bb.68:                               ;   in Loop: Header=BB15_9 Depth=1
	v_mov_b32_e32 v0, 0
	v_mov_b32_e32 v2, v1
	s_mov_b32 s36, 0
	s_mov_b64 s[20:21], s[18:19]
	s_mov_b64 s[22:23], s[0:1]
.LBB15_69:                              ;   Parent Loop BB15_9 Depth=1
                                        ; =>  This Inner Loop Header: Depth=2
	s_clause 0x1
	s_load_b256 s[40:47], s[20:21], 0x4
	s_load_b128 s[48:51], s[20:21], 0x24
	s_load_b128 s[52:55], s[22:23], 0x0
	s_add_u32 s20, s20, 48
	s_addc_u32 s21, s21, 0
	s_add_i32 s36, s36, 4
	s_add_u32 s22, s22, 16
	s_addc_u32 s23, s23, 0
	s_cmp_eq_u32 s31, s36
	s_waitcnt lgkmcnt(0)
	v_mul_hi_u32 v7, s41, v2
	s_delay_alu instid0(VALU_DEP_1) | instskip(NEXT) | instid1(VALU_DEP_1)
	v_add_nc_u32_e32 v7, v2, v7
	v_lshrrev_b32_e32 v7, s42, v7
	s_delay_alu instid0(VALU_DEP_1) | instskip(SKIP_1) | instid1(VALU_DEP_2)
	v_mul_hi_u32 v8, s44, v7
	v_mul_lo_u32 v16, v7, s40
	v_add_nc_u32_e32 v8, v7, v8
	s_delay_alu instid0(VALU_DEP_2) | instskip(NEXT) | instid1(VALU_DEP_2)
	v_sub_nc_u32_e32 v16, v2, v16
	v_lshrrev_b32_e32 v8, s45, v8
	s_delay_alu instid0(VALU_DEP_2) | instskip(NEXT) | instid1(VALU_DEP_2)
	v_mul_lo_u32 v16, v16, s52
	v_mul_hi_u32 v9, s47, v8
	v_mul_lo_u32 v41, v8, s43
	s_delay_alu instid0(VALU_DEP_2) | instskip(NEXT) | instid1(VALU_DEP_2)
	v_add_nc_u32_e32 v9, v8, v9
	v_sub_nc_u32_e32 v7, v7, v41
	s_delay_alu instid0(VALU_DEP_2) | instskip(NEXT) | instid1(VALU_DEP_2)
	v_lshrrev_b32_e32 v9, s48, v9
	v_mul_lo_u32 v7, v7, s53
	s_delay_alu instid0(VALU_DEP_2) | instskip(NEXT) | instid1(VALU_DEP_2)
	v_mul_hi_u32 v10, s50, v9
	v_add3_u32 v0, v16, v0, v7
	s_delay_alu instid0(VALU_DEP_2) | instskip(NEXT) | instid1(VALU_DEP_1)
	v_add_nc_u32_e32 v10, v9, v10
	v_lshrrev_b32_e32 v2, s51, v10
	v_mul_lo_u32 v10, v9, s46
	s_delay_alu instid0(VALU_DEP_2) | instskip(NEXT) | instid1(VALU_DEP_2)
	v_mul_lo_u32 v42, v2, s49
	v_sub_nc_u32_e32 v8, v8, v10
	s_delay_alu instid0(VALU_DEP_2) | instskip(NEXT) | instid1(VALU_DEP_2)
	v_sub_nc_u32_e32 v9, v9, v42
	v_mul_lo_u32 v8, v8, s54
	s_delay_alu instid0(VALU_DEP_2) | instskip(NEXT) | instid1(VALU_DEP_1)
	v_mul_lo_u32 v9, v9, s55
	v_add3_u32 v0, v8, v0, v9
	s_cbranch_scc0 .LBB15_69
; %bb.70:                               ;   in Loop: Header=BB15_9 Depth=1
	s_mov_b32 s20, s31
	s_and_not1_b32 vcc_lo, exec_lo, s34
	s_cbranch_vccz .LBB15_73
	s_branch .LBB15_75
.LBB15_71:                              ;   in Loop: Header=BB15_9 Depth=1
                                        ; implicit-def: $vgpr0
	s_branch .LBB15_76
.LBB15_72:                              ;   in Loop: Header=BB15_9 Depth=1
	v_mov_b32_e32 v2, v1
	s_and_not1_b32 vcc_lo, exec_lo, s34
	s_cbranch_vccnz .LBB15_75
.LBB15_73:                              ;   in Loop: Header=BB15_9 Depth=1
	s_lshl_b32 s21, s20, 2
	s_mul_i32 s22, s20, 12
	s_add_u32 s20, s0, s21
	s_addc_u32 s21, s1, 0
	s_add_u32 s22, s18, s22
	s_addc_u32 s23, s19, 0
	s_mov_b32 s36, s29
	.p2align	6
.LBB15_74:                              ;   Parent Loop BB15_9 Depth=1
                                        ; =>  This Inner Loop Header: Depth=2
	s_clause 0x1
	s_load_b64 s[38:39], s[22:23], 0x4
	s_load_b32 s37, s[22:23], 0xc
	s_add_u32 s22, s22, 12
	s_addc_u32 s23, s23, 0
	s_waitcnt lgkmcnt(0)
	v_mul_hi_u32 v7, s39, v2
	s_load_b32 s39, s[20:21], 0x0
	s_add_u32 s20, s20, 4
	s_addc_u32 s21, s21, 0
	s_add_i32 s36, s36, -1
	s_delay_alu instid0(SALU_CYCLE_1) | instskip(NEXT) | instid1(VALU_DEP_1)
	s_cmp_lg_u32 s36, 0
	v_add_nc_u32_e32 v7, v2, v7
	s_delay_alu instid0(VALU_DEP_1) | instskip(NEXT) | instid1(VALU_DEP_1)
	v_lshrrev_b32_e32 v9, s37, v7
	v_mul_lo_u32 v7, v9, s38
	s_delay_alu instid0(VALU_DEP_1) | instskip(SKIP_1) | instid1(VALU_DEP_1)
	v_sub_nc_u32_e32 v2, v2, v7
	s_waitcnt lgkmcnt(0)
	v_mad_u64_u32 v[7:8], null, v2, s39, v[0:1]
	v_mov_b32_e32 v2, v9
	s_delay_alu instid0(VALU_DEP_2)
	v_mov_b32_e32 v0, v7
	s_cbranch_scc1 .LBB15_74
.LBB15_75:                              ;   in Loop: Header=BB15_9 Depth=1
	s_cbranch_execnz .LBB15_7
.LBB15_76:                              ;   in Loop: Header=BB15_9 Depth=1
	v_mul_hi_u32 v0, v1, s6
	s_and_not1_b32 vcc_lo, exec_lo, s4
	s_delay_alu instid0(VALU_DEP_1) | instskip(NEXT) | instid1(VALU_DEP_1)
	v_add_nc_u32_e32 v0, v0, v1
	v_lshrrev_b32_e32 v2, s7, v0
	s_delay_alu instid0(VALU_DEP_1) | instskip(NEXT) | instid1(VALU_DEP_1)
	v_mul_lo_u32 v0, v2, s5
	v_sub_nc_u32_e32 v0, v1, v0
	s_waitcnt lgkmcnt(0)
	s_delay_alu instid0(VALU_DEP_1)
	v_mul_lo_u32 v0, v0, s14
	s_cbranch_vccnz .LBB15_7
; %bb.77:                               ;   in Loop: Header=BB15_9 Depth=1
	v_mul_hi_u32 v1, s9, v2
	s_delay_alu instid0(VALU_DEP_1) | instskip(NEXT) | instid1(VALU_DEP_1)
	v_add_nc_u32_e32 v1, v2, v1
	v_lshrrev_b32_e32 v1, s10, v1
	s_delay_alu instid0(VALU_DEP_1) | instskip(NEXT) | instid1(VALU_DEP_1)
	v_mul_lo_u32 v1, v1, s8
	v_sub_nc_u32_e32 v7, v2, v1
	s_delay_alu instid0(VALU_DEP_1) | instskip(NEXT) | instid1(VALU_DEP_1)
	v_mad_u64_u32 v[1:2], null, v7, s15, v[0:1]
	v_mov_b32_e32 v0, v1
	s_branch .LBB15_7
.LBB15_78:
	s_endpgm
.LBB15_79:
                                        ; implicit-def: $sgpr2_sgpr3
	s_branch .LBB15_4
	.section	.rodata,"a",@progbits
	.p2align	6, 0x0
	.amdhsa_kernel _ZN2at6native12_GLOBAL__N_143distribution_elementwise_grid_stride_kernelIfLi4EZNS0_9templates4cuda21uniform_and_transformIlfPNS_17CUDAGeneratorImplEZZZNS4_16geometric_kernelIS7_EEvRNS_18TensorIteratorBaseEdT_ENKUlvE_clEvENKUlvE2_clEvEUlfE_EEvSA_T1_T2_EUlP25hiprandStatePhilox4_32_10E0_ZNS1_27distribution_nullary_kernelIlf15HIP_vector_typeIfLj4EES7_SJ_SE_EEvSA_SG_RKT3_T4_EUlifE0_EEvlNS_15PhiloxCudaStateESF_SG_
		.amdhsa_group_segment_fixed_size 0
		.amdhsa_private_segment_fixed_size 0
		.amdhsa_kernarg_size 584
		.amdhsa_user_sgpr_count 15
		.amdhsa_user_sgpr_dispatch_ptr 0
		.amdhsa_user_sgpr_queue_ptr 0
		.amdhsa_user_sgpr_kernarg_segment_ptr 1
		.amdhsa_user_sgpr_dispatch_id 0
		.amdhsa_user_sgpr_private_segment_size 0
		.amdhsa_wavefront_size32 1
		.amdhsa_uses_dynamic_stack 0
		.amdhsa_enable_private_segment 0
		.amdhsa_system_sgpr_workgroup_id_x 1
		.amdhsa_system_sgpr_workgroup_id_y 0
		.amdhsa_system_sgpr_workgroup_id_z 0
		.amdhsa_system_sgpr_workgroup_info 0
		.amdhsa_system_vgpr_workitem_id 0
		.amdhsa_next_free_vgpr 45
		.amdhsa_next_free_sgpr 56
		.amdhsa_reserve_vcc 1
		.amdhsa_float_round_mode_32 0
		.amdhsa_float_round_mode_16_64 0
		.amdhsa_float_denorm_mode_32 3
		.amdhsa_float_denorm_mode_16_64 3
		.amdhsa_dx10_clamp 1
		.amdhsa_ieee_mode 1
		.amdhsa_fp16_overflow 0
		.amdhsa_workgroup_processor_mode 1
		.amdhsa_memory_ordered 1
		.amdhsa_forward_progress 0
		.amdhsa_shared_vgpr_count 0
		.amdhsa_exception_fp_ieee_invalid_op 0
		.amdhsa_exception_fp_denorm_src 0
		.amdhsa_exception_fp_ieee_div_zero 0
		.amdhsa_exception_fp_ieee_overflow 0
		.amdhsa_exception_fp_ieee_underflow 0
		.amdhsa_exception_fp_ieee_inexact 0
		.amdhsa_exception_int_div_zero 0
	.end_amdhsa_kernel
	.section	.text._ZN2at6native12_GLOBAL__N_143distribution_elementwise_grid_stride_kernelIfLi4EZNS0_9templates4cuda21uniform_and_transformIlfPNS_17CUDAGeneratorImplEZZZNS4_16geometric_kernelIS7_EEvRNS_18TensorIteratorBaseEdT_ENKUlvE_clEvENKUlvE2_clEvEUlfE_EEvSA_T1_T2_EUlP25hiprandStatePhilox4_32_10E0_ZNS1_27distribution_nullary_kernelIlf15HIP_vector_typeIfLj4EES7_SJ_SE_EEvSA_SG_RKT3_T4_EUlifE0_EEvlNS_15PhiloxCudaStateESF_SG_,"axG",@progbits,_ZN2at6native12_GLOBAL__N_143distribution_elementwise_grid_stride_kernelIfLi4EZNS0_9templates4cuda21uniform_and_transformIlfPNS_17CUDAGeneratorImplEZZZNS4_16geometric_kernelIS7_EEvRNS_18TensorIteratorBaseEdT_ENKUlvE_clEvENKUlvE2_clEvEUlfE_EEvSA_T1_T2_EUlP25hiprandStatePhilox4_32_10E0_ZNS1_27distribution_nullary_kernelIlf15HIP_vector_typeIfLj4EES7_SJ_SE_EEvSA_SG_RKT3_T4_EUlifE0_EEvlNS_15PhiloxCudaStateESF_SG_,comdat
.Lfunc_end15:
	.size	_ZN2at6native12_GLOBAL__N_143distribution_elementwise_grid_stride_kernelIfLi4EZNS0_9templates4cuda21uniform_and_transformIlfPNS_17CUDAGeneratorImplEZZZNS4_16geometric_kernelIS7_EEvRNS_18TensorIteratorBaseEdT_ENKUlvE_clEvENKUlvE2_clEvEUlfE_EEvSA_T1_T2_EUlP25hiprandStatePhilox4_32_10E0_ZNS1_27distribution_nullary_kernelIlf15HIP_vector_typeIfLj4EES7_SJ_SE_EEvSA_SG_RKT3_T4_EUlifE0_EEvlNS_15PhiloxCudaStateESF_SG_, .Lfunc_end15-_ZN2at6native12_GLOBAL__N_143distribution_elementwise_grid_stride_kernelIfLi4EZNS0_9templates4cuda21uniform_and_transformIlfPNS_17CUDAGeneratorImplEZZZNS4_16geometric_kernelIS7_EEvRNS_18TensorIteratorBaseEdT_ENKUlvE_clEvENKUlvE2_clEvEUlfE_EEvSA_T1_T2_EUlP25hiprandStatePhilox4_32_10E0_ZNS1_27distribution_nullary_kernelIlf15HIP_vector_typeIfLj4EES7_SJ_SE_EEvSA_SG_RKT3_T4_EUlifE0_EEvlNS_15PhiloxCudaStateESF_SG_
                                        ; -- End function
	.section	.AMDGPU.csdata,"",@progbits
; Kernel info:
; codeLenInByte = 7044
; NumSgprs: 58
; NumVgprs: 45
; ScratchSize: 0
; MemoryBound: 0
; FloatMode: 240
; IeeeMode: 1
; LDSByteSize: 0 bytes/workgroup (compile time only)
; SGPRBlocks: 7
; VGPRBlocks: 5
; NumSGPRsForWavesPerEU: 58
; NumVGPRsForWavesPerEU: 45
; Occupancy: 16
; WaveLimiterHint : 1
; COMPUTE_PGM_RSRC2:SCRATCH_EN: 0
; COMPUTE_PGM_RSRC2:USER_SGPR: 15
; COMPUTE_PGM_RSRC2:TRAP_HANDLER: 0
; COMPUTE_PGM_RSRC2:TGID_X_EN: 1
; COMPUTE_PGM_RSRC2:TGID_Y_EN: 0
; COMPUTE_PGM_RSRC2:TGID_Z_EN: 0
; COMPUTE_PGM_RSRC2:TIDIG_COMP_CNT: 0
	.section	.text._ZN2at6native12_GLOBAL__N_143distribution_elementwise_grid_stride_kernelIfLi4EZNS0_9templates4cuda21uniform_and_transformIsfPNS_17CUDAGeneratorImplEZZZNS4_16geometric_kernelIS7_EEvRNS_18TensorIteratorBaseEdT_ENKUlvE_clEvENKUlvE3_clEvEUlfE_EEvSA_T1_T2_EUlP25hiprandStatePhilox4_32_10E_ZNS1_27distribution_nullary_kernelIsf15HIP_vector_typeIdLj2EES7_SJ_SE_EEvSA_SG_RKT3_T4_EUlifE_EEvlNS_15PhiloxCudaStateESF_SG_,"axG",@progbits,_ZN2at6native12_GLOBAL__N_143distribution_elementwise_grid_stride_kernelIfLi4EZNS0_9templates4cuda21uniform_and_transformIsfPNS_17CUDAGeneratorImplEZZZNS4_16geometric_kernelIS7_EEvRNS_18TensorIteratorBaseEdT_ENKUlvE_clEvENKUlvE3_clEvEUlfE_EEvSA_T1_T2_EUlP25hiprandStatePhilox4_32_10E_ZNS1_27distribution_nullary_kernelIsf15HIP_vector_typeIdLj2EES7_SJ_SE_EEvSA_SG_RKT3_T4_EUlifE_EEvlNS_15PhiloxCudaStateESF_SG_,comdat
	.globl	_ZN2at6native12_GLOBAL__N_143distribution_elementwise_grid_stride_kernelIfLi4EZNS0_9templates4cuda21uniform_and_transformIsfPNS_17CUDAGeneratorImplEZZZNS4_16geometric_kernelIS7_EEvRNS_18TensorIteratorBaseEdT_ENKUlvE_clEvENKUlvE3_clEvEUlfE_EEvSA_T1_T2_EUlP25hiprandStatePhilox4_32_10E_ZNS1_27distribution_nullary_kernelIsf15HIP_vector_typeIdLj2EES7_SJ_SE_EEvSA_SG_RKT3_T4_EUlifE_EEvlNS_15PhiloxCudaStateESF_SG_ ; -- Begin function _ZN2at6native12_GLOBAL__N_143distribution_elementwise_grid_stride_kernelIfLi4EZNS0_9templates4cuda21uniform_and_transformIsfPNS_17CUDAGeneratorImplEZZZNS4_16geometric_kernelIS7_EEvRNS_18TensorIteratorBaseEdT_ENKUlvE_clEvENKUlvE3_clEvEUlfE_EEvSA_T1_T2_EUlP25hiprandStatePhilox4_32_10E_ZNS1_27distribution_nullary_kernelIsf15HIP_vector_typeIdLj2EES7_SJ_SE_EEvSA_SG_RKT3_T4_EUlifE_EEvlNS_15PhiloxCudaStateESF_SG_
	.p2align	8
	.type	_ZN2at6native12_GLOBAL__N_143distribution_elementwise_grid_stride_kernelIfLi4EZNS0_9templates4cuda21uniform_and_transformIsfPNS_17CUDAGeneratorImplEZZZNS4_16geometric_kernelIS7_EEvRNS_18TensorIteratorBaseEdT_ENKUlvE_clEvENKUlvE3_clEvEUlfE_EEvSA_T1_T2_EUlP25hiprandStatePhilox4_32_10E_ZNS1_27distribution_nullary_kernelIsf15HIP_vector_typeIdLj2EES7_SJ_SE_EEvSA_SG_RKT3_T4_EUlifE_EEvlNS_15PhiloxCudaStateESF_SG_,@function
_ZN2at6native12_GLOBAL__N_143distribution_elementwise_grid_stride_kernelIfLi4EZNS0_9templates4cuda21uniform_and_transformIsfPNS_17CUDAGeneratorImplEZZZNS4_16geometric_kernelIS7_EEvRNS_18TensorIteratorBaseEdT_ENKUlvE_clEvENKUlvE3_clEvEUlfE_EEvSA_T1_T2_EUlP25hiprandStatePhilox4_32_10E_ZNS1_27distribution_nullary_kernelIsf15HIP_vector_typeIdLj2EES7_SJ_SE_EEvSA_SG_RKT3_T4_EUlifE_EEvlNS_15PhiloxCudaStateESF_SG_: ; @_ZN2at6native12_GLOBAL__N_143distribution_elementwise_grid_stride_kernelIfLi4EZNS0_9templates4cuda21uniform_and_transformIsfPNS_17CUDAGeneratorImplEZZZNS4_16geometric_kernelIS7_EEvRNS_18TensorIteratorBaseEdT_ENKUlvE_clEvENKUlvE3_clEvEUlfE_EEvSA_T1_T2_EUlP25hiprandStatePhilox4_32_10E_ZNS1_27distribution_nullary_kernelIsf15HIP_vector_typeIdLj2EES7_SJ_SE_EEvSA_SG_RKT3_T4_EUlifE_EEvlNS_15PhiloxCudaStateESF_SG_
; %bb.0:
	s_clause 0x2
	s_load_b64 s[8:9], s[0:1], 0x10
	s_load_b128 s[4:7], s[0:1], 0x0
	s_load_b32 s2, s[0:1], 0x20
	s_waitcnt lgkmcnt(0)
	v_dual_mov_b32 v2, s8 :: v_dual_mov_b32 v3, s9
	v_dual_mov_b32 v9, s7 :: v_dual_mov_b32 v8, s6
	s_bitcmp0_b32 s2, 0
	s_mov_b32 s2, 0
	s_cbranch_scc1 .LBB16_2
; %bb.1:
	v_dual_mov_b32 v1, s8 :: v_dual_mov_b32 v2, s9
	v_dual_mov_b32 v4, s6 :: v_dual_mov_b32 v5, s7
	s_load_b64 s[6:7], s[0:1], 0x18
	flat_load_b64 v[2:3], v[1:2]
	flat_load_b64 v[8:9], v[4:5]
	s_waitcnt vmcnt(1) lgkmcnt(0)
	v_add_co_u32 v2, vcc_lo, v2, s6
	v_add_co_ci_u32_e32 v3, vcc_lo, s7, v3, vcc_lo
.LBB16_2:
	s_clause 0x1
	s_load_b32 s3, s[0:1], 0x54
	s_load_b32 s11, s[0:1], 0x48
	s_waitcnt lgkmcnt(0)
	s_and_b32 s10, s3, 0xffff
	s_add_u32 s6, s4, -1
	s_mul_i32 s8, s11, s10
	s_addc_u32 s3, s5, -1
	s_lshl_b32 s9, s8, 2
	s_cmp_lg_u64 s[2:3], 0
	s_cbranch_scc0 .LBB16_27
; %bb.3:
	v_cvt_f32_ubyte0_e32 v1, 0
	v_cvt_f32_u32_e32 v4, s9
	s_sub_u32 s12, 0, s9
	s_subb_u32 s13, 0, 0
	s_delay_alu instid0(VALU_DEP_1) | instskip(NEXT) | instid1(VALU_DEP_1)
	v_fmamk_f32 v1, v1, 0x4f800000, v4
	v_rcp_f32_e32 v1, v1
	s_waitcnt_depctr 0xfff
	v_mul_f32_e32 v1, 0x5f7ffffc, v1
	s_delay_alu instid0(VALU_DEP_1) | instskip(NEXT) | instid1(VALU_DEP_1)
	v_mul_f32_e32 v4, 0x2f800000, v1
	v_trunc_f32_e32 v4, v4
	s_delay_alu instid0(VALU_DEP_1) | instskip(SKIP_1) | instid1(VALU_DEP_2)
	v_fmamk_f32 v1, v4, 0xcf800000, v1
	v_cvt_u32_f32_e32 v4, v4
	v_cvt_u32_f32_e32 v1, v1
	s_delay_alu instid0(VALU_DEP_2) | instskip(NEXT) | instid1(VALU_DEP_2)
	v_readfirstlane_b32 s2, v4
	v_readfirstlane_b32 s7, v1
	s_delay_alu instid0(VALU_DEP_2) | instskip(NEXT) | instid1(VALU_DEP_1)
	s_mul_i32 s14, s12, s2
	s_mul_hi_u32 s17, s12, s7
	s_mul_i32 s16, s13, s7
	s_add_i32 s14, s17, s14
	s_mul_i32 s18, s12, s7
	s_add_i32 s14, s14, s16
	s_mul_hi_u32 s17, s7, s18
	s_mul_hi_u32 s19, s2, s18
	s_mul_i32 s16, s2, s18
	s_mul_hi_u32 s18, s7, s14
	s_mul_i32 s7, s7, s14
	s_mul_hi_u32 s20, s2, s14
	s_add_u32 s7, s17, s7
	s_addc_u32 s17, 0, s18
	s_add_u32 s7, s7, s16
	s_mul_i32 s14, s2, s14
	s_addc_u32 s7, s17, s19
	s_addc_u32 s16, s20, 0
	s_add_u32 s7, s7, s14
	s_addc_u32 s14, 0, s16
	v_add_co_u32 v1, s7, v1, s7
	s_delay_alu instid0(VALU_DEP_1) | instskip(SKIP_1) | instid1(VALU_DEP_1)
	s_cmp_lg_u32 s7, 0
	s_addc_u32 s2, s2, s14
	v_readfirstlane_b32 s7, v1
	s_mul_i32 s14, s12, s2
	s_delay_alu instid0(VALU_DEP_1)
	s_mul_hi_u32 s16, s12, s7
	s_mul_i32 s13, s13, s7
	s_add_i32 s14, s16, s14
	s_mul_i32 s12, s12, s7
	s_add_i32 s14, s14, s13
	s_mul_hi_u32 s16, s2, s12
	s_mul_i32 s17, s2, s12
	s_mul_hi_u32 s12, s7, s12
	s_mul_hi_u32 s18, s7, s14
	s_mul_i32 s7, s7, s14
	s_mul_hi_u32 s13, s2, s14
	s_add_u32 s7, s12, s7
	s_addc_u32 s12, 0, s18
	s_add_u32 s7, s7, s17
	s_mul_i32 s14, s2, s14
	s_addc_u32 s7, s12, s16
	s_addc_u32 s12, s13, 0
	s_add_u32 s7, s7, s14
	s_addc_u32 s12, 0, s12
	v_add_co_u32 v1, s7, v1, s7
	s_delay_alu instid0(VALU_DEP_1) | instskip(SKIP_2) | instid1(VALU_DEP_1)
	s_cmp_lg_u32 s7, 0
	s_addc_u32 s7, s2, s12
	s_ashr_i32 s12, s3, 31
	v_readfirstlane_b32 s14, v1
	s_add_u32 s2, s6, s12
	s_mov_b32 s13, s12
	s_addc_u32 s3, s3, s12
	s_delay_alu instid0(SALU_CYCLE_1) | instskip(NEXT) | instid1(SALU_CYCLE_1)
	s_xor_b64 s[2:3], s[2:3], s[12:13]
	s_mul_i32 s17, s2, s7
	s_mul_hi_u32 s18, s2, s14
	s_mul_hi_u32 s16, s2, s7
	;; [unrolled: 1-line block ×3, first 2 shown]
	s_mul_i32 s14, s3, s14
	s_add_u32 s17, s18, s17
	s_addc_u32 s16, 0, s16
	s_mul_hi_u32 s19, s3, s7
	s_add_u32 s14, s17, s14
	s_mul_i32 s7, s3, s7
	s_addc_u32 s14, s16, s20
	s_addc_u32 s16, s19, 0
	s_add_u32 s7, s14, s7
	s_addc_u32 s14, 0, s16
	s_mul_i32 s17, s9, s7
	s_add_u32 s16, s7, 1
	v_sub_co_u32 v1, s2, s2, s17
	s_mul_hi_u32 s17, s9, s7
	s_addc_u32 s18, s14, 0
	s_mul_i32 s19, s9, s14
	s_delay_alu instid0(VALU_DEP_1)
	v_sub_co_u32 v4, s20, v1, s9
	s_add_u32 s21, s7, 2
	s_addc_u32 s22, s14, 0
	s_add_i32 s17, s17, s19
	s_cmp_lg_u32 s2, 0
	v_readfirstlane_b32 s2, v4
	s_subb_u32 s3, s3, s17
	s_cmp_lg_u32 s20, 0
	s_subb_u32 s17, s3, 0
	s_delay_alu instid0(VALU_DEP_1) | instskip(SKIP_4) | instid1(SALU_CYCLE_1)
	s_cmp_ge_u32 s2, s9
	s_cselect_b32 s2, -1, 0
	s_cmp_eq_u32 s17, 0
	v_readfirstlane_b32 s17, v1
	s_cselect_b32 s2, s2, -1
	s_cmp_lg_u32 s2, 0
	s_cselect_b32 s2, s21, s16
	s_cselect_b32 s16, s22, s18
	s_cmp_ge_u32 s17, s9
	s_cselect_b32 s17, -1, 0
	s_cmp_eq_u32 s3, 0
	s_cselect_b32 s3, s17, -1
	s_delay_alu instid0(SALU_CYCLE_1) | instskip(SKIP_2) | instid1(SALU_CYCLE_1)
	s_cmp_lg_u32 s3, 0
	s_cselect_b32 s3, s16, s14
	s_cselect_b32 s2, s2, s7
	s_xor_b64 s[2:3], s[2:3], s[12:13]
	s_delay_alu instid0(SALU_CYCLE_1)
	s_sub_u32 s2, s2, s12
	s_subb_u32 s3, s3, s12
	s_cbranch_execnz .LBB16_5
.LBB16_4:
	v_cvt_f32_u32_e32 v1, s9
	s_sub_i32 s3, 0, s9
	s_delay_alu instid0(VALU_DEP_1) | instskip(SKIP_2) | instid1(VALU_DEP_1)
	v_rcp_iflag_f32_e32 v1, v1
	s_waitcnt_depctr 0xfff
	v_mul_f32_e32 v1, 0x4f7ffffe, v1
	v_cvt_u32_f32_e32 v1, v1
	s_delay_alu instid0(VALU_DEP_1) | instskip(NEXT) | instid1(VALU_DEP_1)
	v_readfirstlane_b32 s2, v1
	s_mul_i32 s3, s3, s2
	s_delay_alu instid0(SALU_CYCLE_1) | instskip(NEXT) | instid1(SALU_CYCLE_1)
	s_mul_hi_u32 s3, s2, s3
	s_add_i32 s2, s2, s3
	s_delay_alu instid0(SALU_CYCLE_1) | instskip(NEXT) | instid1(SALU_CYCLE_1)
	s_mul_hi_u32 s2, s6, s2
	s_mul_i32 s3, s2, s9
	s_delay_alu instid0(SALU_CYCLE_1)
	s_sub_i32 s3, s6, s3
	s_add_i32 s6, s2, 1
	s_sub_i32 s7, s3, s9
	s_cmp_ge_u32 s3, s9
	s_cselect_b32 s2, s6, s2
	s_cselect_b32 s3, s7, s3
	s_add_i32 s6, s2, 1
	s_cmp_ge_u32 s3, s9
	s_mov_b32 s3, 0
	s_cselect_b32 s2, s6, s2
.LBB16_5:
	v_mov_b32_e32 v1, 0
	s_add_u32 s2, s2, 1
	s_addc_u32 s3, s3, 0
	s_mul_hi_u32 s6, s8, s2
	s_mul_i32 s3, s8, s3
	v_mad_u64_u32 v[10:11], null, s10, s15, v[0:1]
	s_mul_hi_u32 s7, s11, s10
	s_add_i32 s3, s6, s3
	s_mul_i32 s7, s7, s2
	s_mul_i32 s2, s8, s2
	s_add_i32 s3, s3, s7
	s_mov_b32 s6, exec_lo
	s_lshl_b64 s[2:3], s[2:3], 2
	s_delay_alu instid0(SALU_CYCLE_1)
	v_cmpx_gt_i64_e64 s[2:3], v[10:11]
	s_cbranch_execz .LBB16_26
; %bb.6:
	s_load_b64 s[6:7], s[0:1], 0x40
	v_alignbit_b32 v21, v3, v2, 2
	v_lshrrev_b32_e32 v22, 2, v3
	s_waitcnt vmcnt(0)
	v_add_co_u32 v20, null, 0x9e3779b9, v8
	v_add_co_u32 v23, null, 0x3c6ef372, v8
	;; [unrolled: 1-line block ×5, first 2 shown]
	s_add_i32 s16, s15, s11
	s_mul_i32 s13, s11, 3
	v_add_co_u32 v26, null, 0xf1bbcdc8, v8
	s_add_i32 s13, s15, s13
	v_mov_b32_e32 v40, v9
	s_waitcnt lgkmcnt(0)
	v_cvt_f32_f64_e32 v32, s[6:7]
	s_clause 0x1
	s_load_b64 s[6:7], s[0:1], 0x30
	s_load_b32 s12, s[0:1], 0x38
	s_mov_b32 s1, 0x3e9b6dac
	s_mov_b32 s0, 0
	v_add_co_u32 v27, null, 0xbb67ae85, v40
	v_log_f32_e32 v33, s0
	s_delay_alu instid0(VALU_DEP_2) | instskip(SKIP_1) | instid1(VALU_DEP_2)
	v_sub_f32_e32 v1, 1.0, v32
	v_cmp_gt_f32_e64 s14, 0x33800000, |v32|
	v_cvt_f64_f32_e32 v[4:5], v1
	s_delay_alu instid0(VALU_DEP_1) | instskip(SKIP_1) | instid1(VALU_DEP_1)
	v_frexp_exp_i32_f64_e32 v4, v[4:5]
	v_frexp_mant_f32_e32 v5, v1
	v_cmp_gt_f32_e32 vcc_lo, 0x3f2aaaab, v5
	v_add_f32_e32 v5, -1.0, v1
	s_delay_alu instid0(VALU_DEP_1) | instskip(SKIP_3) | instid1(VALU_DEP_2)
	v_sub_f32_e32 v7, v5, v1
	v_sub_f32_e64 v5, -v32, v5
	v_subrev_co_ci_u32_e32 v4, vcc_lo, 0, v4, vcc_lo
	v_cmp_eq_f32_e32 vcc_lo, 0xff800000, v32
	v_sub_nc_u32_e32 v6, 0, v4
	v_cvt_f32_i32_e32 v4, v4
	s_delay_alu instid0(VALU_DEP_2) | instskip(NEXT) | instid1(VALU_DEP_1)
	v_ldexp_f32 v1, v1, v6
	v_dual_add_f32 v7, 1.0, v7 :: v_dual_add_f32 v12, 1.0, v1
	s_delay_alu instid0(VALU_DEP_1) | instskip(NEXT) | instid1(VALU_DEP_1)
	v_add_f32_e32 v5, v5, v7
	v_ldexp_f32 v5, v5, v6
	s_delay_alu instid0(VALU_DEP_3) | instskip(NEXT) | instid1(VALU_DEP_1)
	v_dual_add_f32 v6, -1.0, v1 :: v_dual_add_f32 v7, -1.0, v12
	v_add_f32_e32 v13, 1.0, v6
	s_delay_alu instid0(VALU_DEP_2) | instskip(NEXT) | instid1(VALU_DEP_2)
	v_sub_f32_e32 v7, v1, v7
	v_sub_f32_e32 v1, v1, v13
	s_delay_alu instid0(VALU_DEP_1) | instskip(NEXT) | instid1(VALU_DEP_1)
	v_add_f32_e32 v1, v5, v1
	v_dual_add_f32 v14, v6, v1 :: v_dual_add_f32 v7, v5, v7
	s_delay_alu instid0(VALU_DEP_1) | instskip(NEXT) | instid1(VALU_DEP_1)
	v_dual_sub_f32 v6, v14, v6 :: v_dual_add_f32 v13, v12, v7
	v_sub_f32_e32 v1, v1, v6
	s_delay_alu instid0(VALU_DEP_2) | instskip(SKIP_1) | instid1(VALU_DEP_1)
	v_rcp_f32_e32 v5, v13
	v_sub_f32_e32 v12, v13, v12
	v_sub_f32_e32 v7, v7, v12
	s_waitcnt_depctr 0xfff
	v_mul_f32_e32 v15, v14, v5
	s_delay_alu instid0(VALU_DEP_1) | instskip(NEXT) | instid1(VALU_DEP_1)
	v_mul_f32_e32 v16, v13, v15
	v_fma_f32 v12, v15, v13, -v16
	s_delay_alu instid0(VALU_DEP_1) | instskip(NEXT) | instid1(VALU_DEP_1)
	v_fmac_f32_e32 v12, v15, v7
	v_add_f32_e32 v17, v16, v12
	s_delay_alu instid0(VALU_DEP_1) | instskip(SKIP_1) | instid1(VALU_DEP_2)
	v_sub_f32_e32 v18, v14, v17
	v_sub_f32_e32 v6, v17, v16
	v_sub_f32_e32 v14, v14, v18
	s_delay_alu instid0(VALU_DEP_2) | instskip(NEXT) | instid1(VALU_DEP_2)
	v_sub_f32_e32 v6, v6, v12
	v_sub_f32_e32 v14, v14, v17
	s_delay_alu instid0(VALU_DEP_1) | instskip(NEXT) | instid1(VALU_DEP_1)
	v_add_f32_e32 v1, v1, v14
	v_add_f32_e32 v1, v6, v1
	s_delay_alu instid0(VALU_DEP_1) | instskip(NEXT) | instid1(VALU_DEP_1)
	v_add_f32_e32 v6, v18, v1
	v_mul_f32_e32 v12, v5, v6
	v_sub_f32_e32 v17, v18, v6
	v_add_co_u32 v18, null, 0x1715609d, v8
	s_delay_alu instid0(VALU_DEP_3) | instskip(NEXT) | instid1(VALU_DEP_3)
	v_mul_f32_e32 v14, v13, v12
	v_add_f32_e32 v1, v1, v17
	v_add_co_u32 v17, null, 0x5384540f, v8
	s_delay_alu instid0(VALU_DEP_3) | instskip(NEXT) | instid1(VALU_DEP_1)
	v_fma_f32 v13, v12, v13, -v14
	v_fmac_f32_e32 v13, v12, v7
	s_delay_alu instid0(VALU_DEP_1) | instskip(NEXT) | instid1(VALU_DEP_1)
	v_add_f32_e32 v7, v14, v13
	v_sub_f32_e32 v16, v6, v7
	s_delay_alu instid0(VALU_DEP_1) | instskip(NEXT) | instid1(VALU_DEP_1)
	v_sub_f32_e32 v6, v6, v16
	v_sub_f32_e32 v6, v6, v7
	s_delay_alu instid0(VALU_DEP_1) | instskip(SKIP_1) | instid1(VALU_DEP_1)
	v_dual_add_f32 v1, v1, v6 :: v_dual_add_f32 v6, v15, v12
	v_sub_f32_e32 v14, v7, v14
	v_dual_sub_f32 v7, v14, v13 :: v_dual_and_b32 v14, 3, v2
	s_delay_alu instid0(VALU_DEP_1) | instskip(NEXT) | instid1(VALU_DEP_4)
	v_add_f32_e32 v1, v7, v1
	v_sub_f32_e32 v7, v6, v15
	s_delay_alu instid0(VALU_DEP_2) | instskip(NEXT) | instid1(VALU_DEP_2)
	v_add_f32_e32 v1, v16, v1
	v_dual_sub_f32 v7, v12, v7 :: v_dual_add_nc_u32 v16, 0x96a522ad, v9
	s_delay_alu instid0(VALU_DEP_2) | instskip(NEXT) | instid1(VALU_DEP_1)
	v_mul_f32_e32 v1, v5, v1
	v_add_f32_e32 v1, v7, v1
	s_delay_alu instid0(VALU_DEP_1) | instskip(NEXT) | instid1(VALU_DEP_1)
	v_add_f32_e32 v5, v6, v1
	v_mul_f32_e32 v7, v5, v5
	s_delay_alu instid0(VALU_DEP_1) | instskip(SKIP_2) | instid1(VALU_DEP_2)
	v_fmaak_f32 v12, s1, v7, 0x3ecc95a3
	v_mul_f32_e32 v13, v5, v7
	s_lshl_b32 s1, s8, 1
	v_fmaak_f32 v7, v7, v12, 0x3f2aaada
	v_ldexp_f32 v12, v5, 1
	v_sub_f32_e32 v5, v5, v6
	s_delay_alu instid0(VALU_DEP_3) | instskip(SKIP_1) | instid1(VALU_DEP_3)
	v_mul_f32_e32 v7, v13, v7
	v_mul_f32_e32 v13, 0x3f317218, v4
	v_sub_f32_e32 v5, v1, v5
	v_mad_u64_u32 v[1:2], null, 0xcd9e8d57, v10, 0
	s_delay_alu instid0(VALU_DEP_4) | instskip(NEXT) | instid1(VALU_DEP_4)
	v_add_f32_e32 v6, v12, v7
	v_fma_f32 v3, 0x3f317218, v4, -v13
	s_delay_alu instid0(VALU_DEP_4) | instskip(NEXT) | instid1(VALU_DEP_3)
	v_ldexp_f32 v5, v5, 1
	v_sub_f32_e32 v12, v6, v12
	v_xor3_b32 v2, v8, v2, v22
	s_delay_alu instid0(VALU_DEP_2) | instskip(SKIP_1) | instid1(VALU_DEP_2)
	v_dual_sub_f32 v7, v7, v12 :: v_dual_fmamk_f32 v12, v4, 0xb102e308, v3
	v_mad_u64_u32 v[3:4], null, 0xd2511f53, v21, 0
	v_add_f32_e32 v7, v5, v7
	s_delay_alu instid0(VALU_DEP_1) | instskip(SKIP_1) | instid1(VALU_DEP_4)
	v_dual_add_f32 v28, v13, v12 :: v_dual_add_f32 v29, v6, v7
	v_add_nc_u32_e32 v15, 0x8ff34781, v8
	v_xor_b32_e32 v31, v4, v9
	v_mad_u64_u32 v[4:5], null, 0xd2511f53, v2, 0
	s_delay_alu instid0(VALU_DEP_4) | instskip(SKIP_1) | instid1(VALU_DEP_4)
	v_add_f32_e32 v30, v28, v29
	v_dual_sub_f32 v13, v28, v13 :: v_dual_sub_f32 v6, v29, v6
	v_xor_b32_e32 v31, v31, v11
	s_delay_alu instid0(VALU_DEP_3) | instskip(NEXT) | instid1(VALU_DEP_3)
	v_sub_f32_e32 v2, v30, v28
	v_dual_sub_f32 v36, v12, v13 :: v_dual_sub_f32 v7, v7, v6
	v_xor3_b32 v35, v27, v5, v3
	s_delay_alu instid0(VALU_DEP_3) | instskip(SKIP_3) | instid1(VALU_DEP_4)
	v_sub_f32_e32 v34, v30, v2
	v_sub_f32_e32 v12, v29, v2
	v_mad_u64_u32 v[2:3], null, 0xcd9e8d57, v31, 0
	v_add_f32_e32 v29, v36, v7
	v_sub_f32_e32 v13, v28, v34
	v_mad_u64_u32 v[5:6], null, 0xcd9e8d57, v35, 0
	s_delay_alu instid0(VALU_DEP_2) | instskip(SKIP_3) | instid1(VALU_DEP_4)
	v_add_f32_e32 v28, v12, v13
	v_mad_u64_u32 v[12:13], null, s15, s10, v[0:1]
	v_sub_f32_e32 v13, v29, v36
	v_xor3_b32 v3, v20, v3, v1
	v_add_f32_e32 v31, v29, v28
	v_xor3_b32 v34, v23, v6, v2
	v_add_co_u32 v28, null, 0x76cf5d0a, v40
	s_delay_alu instid0(VALU_DEP_3) | instskip(SKIP_2) | instid1(VALU_DEP_3)
	v_dual_sub_f32 v6, v29, v13 :: v_dual_add_f32 v35, v30, v31
	v_mad_u64_u32 v[1:2], null, 0xd2511f53, v3, 0
	v_sub_f32_e32 v3, v7, v13
	v_sub_f32_e32 v13, v36, v6
	s_delay_alu instid0(VALU_DEP_4) | instskip(SKIP_2) | instid1(VALU_DEP_4)
	v_sub_f32_e32 v30, v35, v30
	v_mad_u64_u32 v[6:7], null, 0xd2511f53, v34, 0
	v_add_co_u32 v29, null, 0x32370b8f, v40
	v_add_f32_e32 v3, v3, v13
	s_delay_alu instid0(VALU_DEP_4)
	v_sub_f32_e32 v13, v31, v30
	v_xor3_b32 v4, v28, v2, v4
	v_mul_f32_e32 v34, 0x3f317217, v33
	v_xor3_b32 v7, v29, v7, v1
	v_add_co_u32 v30, null, 0xed9eba14, v40
	v_add_f32_e32 v13, v3, v13
	v_mad_u64_u32 v[1:2], null, 0xcd9e8d57, v4, 0
	s_delay_alu instid0(VALU_DEP_4) | instskip(NEXT) | instid1(VALU_DEP_3)
	v_mad_u64_u32 v[3:4], null, 0xcd9e8d57, v7, 0
	v_add_f32_e32 v7, v35, v13
	v_fma_f32 v36, 0x3f317217, v33, -v34
	v_add_co_u32 v31, null, 0xa9066899, v40
	v_xor3_b32 v5, v19, v2, v5
	s_delay_alu instid0(VALU_DEP_4)
	v_cndmask_b32_e64 v7, v7, -v32, vcc_lo
	v_cmp_nlt_f32_e32 vcc_lo, 1.0, v32
	v_xor3_b32 v13, v24, v4, v1
	v_fmac_f32_e32 v36, 0x3377d1cf, v33
	v_mad_u64_u32 v[1:2], null, 0xd2511f53, v5, 0
	v_cndmask_b32_e32 v7, 0x7fc00000, v7, vcc_lo
	v_cmp_neq_f32_e32 vcc_lo, 1.0, v32
	s_delay_alu instid0(VALU_DEP_4)
	v_add_f32_e32 v34, v34, v36
	v_mad_u64_u32 v[4:5], null, 0xd2511f53, v13, 0
	v_add_co_u32 v35, null, 0x1fd5c5a3, v40
	v_cndmask_b32_e32 v7, 0xff800000, v7, vcc_lo
	v_cmp_gt_f32_e64 vcc_lo, 0x7f800000, |v33|
	v_xor3_b32 v2, v30, v2, v6
	v_xor3_b32 v5, v31, v5, v1
	s_delay_alu instid0(VALU_DEP_4) | instskip(SKIP_1) | instid1(VALU_DEP_4)
	v_cndmask_b32_e64 v32, v7, -v32, s14
	v_cndmask_b32_e32 v13, v33, v34, vcc_lo
	v_mad_u64_u32 v[6:7], null, 0xcd9e8d57, v2, 0
	s_delay_alu instid0(VALU_DEP_4) | instskip(NEXT) | instid1(VALU_DEP_3)
	v_mad_u64_u32 v[1:2], null, 0xcd9e8d57, v5, 0
	v_div_scale_f32 v45, null, v32, v32, v13
	v_add_co_u32 v34, null, 0x646e171e, v40
	s_delay_alu instid0(VALU_DEP_4) | instskip(NEXT) | instid1(VALU_DEP_3)
	v_xor3_b32 v3, v18, v7, v3
	v_rcp_f32_e32 v46, v45
	s_delay_alu instid0(VALU_DEP_4) | instskip(SKIP_1) | instid1(VALU_DEP_3)
	v_xor3_b32 v5, v25, v2, v6
	v_div_scale_f32 v47, vcc_lo, v13, v32, v13
	v_mad_u64_u32 v[36:37], null, 0xd2511f53, v3, 0
	s_delay_alu instid0(VALU_DEP_3)
	v_mad_u64_u32 v[2:3], null, 0xd2511f53, v5, 0
	v_mad_u64_u32 v[38:39], null, s13, s10, v[0:1]
	s_waitcnt_depctr 0xfff
	v_fma_f32 v6, -v45, v46, 1.0
	s_lshl_b32 s14, s11, 1
	v_xor3_b32 v7, v34, v37, v4
	s_add_i32 s15, s15, s14
	v_xor3_b32 v3, v35, v3, v36
	v_fmac_f32_e32 v46, v6, v46
	v_add_co_u32 v36, null, 0xdb3d7428, v40
	v_mad_u64_u32 v[4:5], null, 0xcd9e8d57, v7, 0
	v_mad_u64_u32 v[6:7], null, s16, s10, v[0:1]
	s_delay_alu instid0(VALU_DEP_4)
	v_mul_f32_e32 v7, v47, v46
	v_mad_u64_u32 v[41:42], null, 0xcd9e8d57, v3, 0
	s_waitcnt lgkmcnt(0)
	v_mul_lo_u32 v37, s12, v12
	v_xor3_b32 v1, v17, v5, v1
	v_fma_f32 v5, -v45, v7, v47
	v_mul_lo_u32 v38, s12, v38
	s_mul_i32 s11, s11, s12
	v_mov_b32_e32 v33, v10
	v_mad_u64_u32 v[43:44], null, 0xd2511f53, v1, 0
	v_fmac_f32_e32 v7, v5, v46
	v_mad_u64_u32 v[39:40], null, s15, s10, v[0:1]
	v_xor3_b32 v3, v26, v42, v4
	v_mov_b32_e32 v42, v11
	s_delay_alu instid0(VALU_DEP_4)
	v_fma_f32 v0, -v45, v7, v47
	v_xor3_b32 v2, v36, v44, v2
	v_mul_lo_u32 v40, s12, v6
	s_mul_i32 s11, s11, s10
	v_mul_lo_u32 v39, s12, v39
	v_div_fmas_f32 v7, v0, v46, v7
	v_mad_u64_u32 v[4:5], null, 0xcd9e8d57, v2, 0
	v_mad_u64_u32 v[0:1], null, 0xd2511f53, v3, 0
	s_delay_alu instid0(VALU_DEP_3) | instskip(SKIP_3) | instid1(VALU_DEP_3)
	v_div_fixup_f32 v2, v7, v32, v13
	s_mul_i32 s10, s8, 3
	s_lshl_b32 s11, s11, 2
	s_mov_b32 s12, 0
	v_xor3_b32 v3, v5, v41, v15
	v_ceil_f32_e32 v2, v2
	s_delay_alu instid0(VALU_DEP_4) | instskip(SKIP_1) | instid1(VALU_DEP_3)
	v_mov_b32_e32 v6, v0
	v_xor3_b32 v5, v1, v43, v16
	v_cvt_i32_f32_e32 v41, v2
	s_branch .LBB16_8
.LBB16_7:                               ;   in Loop: Header=BB16_8 Depth=1
	s_or_b32 exec_lo, exec_lo, s13
	v_add_co_u32 v10, vcc_lo, v10, s9
	v_add_co_ci_u32_e32 v11, vcc_lo, 0, v11, vcc_lo
	v_mov_b32_e32 v3, v12
	s_add_i32 s12, s12, s11
	s_waitcnt_vscnt null, 0x0
	s_delay_alu instid0(VALU_DEP_2)
	v_cmp_le_i64_e32 vcc_lo, s[2:3], v[10:11]
	s_barrier
	v_mov_b32_e32 v6, v3
	v_dual_mov_b32 v5, v2 :: v_dual_mov_b32 v4, v1
	v_mov_b32_e32 v3, v0
	s_or_b32 s0, vcc_lo, s0
	buffer_gl0_inv
	s_and_not1_b32 exec_lo, exec_lo, s0
	s_cbranch_execz .LBB16_26
.LBB16_8:                               ; =>This Inner Loop Header: Depth=1
	v_add_co_u32 v21, vcc_lo, v21, 1
	s_delay_alu instid0(VALU_DEP_1) | instskip(SKIP_2) | instid1(VALU_DEP_1)
	v_cndmask_b32_e64 v0, 0, 1, vcc_lo
	v_add_co_ci_u32_e32 v22, vcc_lo, 0, v22, vcc_lo
	s_mov_b32 s13, exec_lo
	v_cmp_eq_u32_e32 vcc_lo, 0, v22
	s_delay_alu instid0(VALU_DEP_3) | instskip(NEXT) | instid1(VALU_DEP_1)
	v_cndmask_b32_e32 v0, 0, v0, vcc_lo
	v_add_nc_u32_e32 v33, v0, v33
	s_delay_alu instid0(VALU_DEP_1) | instskip(SKIP_2) | instid1(VALU_DEP_2)
	v_cmp_eq_u32_e32 vcc_lo, 0, v33
	v_cndmask_b32_e32 v0, 0, v0, vcc_lo
	v_mad_u64_u32 v[12:13], null, 0xcd9e8d57, v33, 0
	v_add_nc_u32_e32 v42, v0, v42
	v_mad_u64_u32 v[0:1], null, 0xd2511f53, v21, 0
	s_delay_alu instid0(VALU_DEP_3) | instskip(NEXT) | instid1(VALU_DEP_2)
	v_xor3_b32 v7, v13, v8, v22
	v_xor_b32_e32 v1, v1, v9
	s_delay_alu instid0(VALU_DEP_1) | instskip(NEXT) | instid1(VALU_DEP_3)
	v_xor_b32_e32 v13, v42, v1
	v_mad_u64_u32 v[1:2], null, 0xd2511f53, v7, 0
	s_delay_alu instid0(VALU_DEP_2) | instskip(NEXT) | instid1(VALU_DEP_2)
	v_mad_u64_u32 v[43:44], null, 0xcd9e8d57, v13, 0
	v_xor3_b32 v0, v27, v2, v0
	s_delay_alu instid0(VALU_DEP_2) | instskip(NEXT) | instid1(VALU_DEP_2)
	v_xor3_b32 v2, v20, v44, v12
	v_mad_u64_u32 v[12:13], null, 0xcd9e8d57, v0, 0
	s_delay_alu instid0(VALU_DEP_2) | instskip(NEXT) | instid1(VALU_DEP_2)
	v_mad_u64_u32 v[44:45], null, 0xd2511f53, v2, 0
	v_xor3_b32 v2, v23, v13, v43
	s_delay_alu instid0(VALU_DEP_2) | instskip(NEXT) | instid1(VALU_DEP_2)
	v_xor3_b32 v7, v28, v45, v1
	;; [unrolled: 6-line block ×9, first 2 shown]
	v_mov_b32_e32 v2, v7
	v_cmpx_lt_i32_e32 1, v14
	s_xor_b32 s13, exec_lo, s13
	s_cbranch_execnz .LBB16_18
; %bb.9:                                ;   in Loop: Header=BB16_8 Depth=1
	s_and_not1_saveexec_b32 s13, s13
	s_cbranch_execnz .LBB16_23
.LBB16_10:                              ;   in Loop: Header=BB16_8 Depth=1
	s_or_b32 exec_lo, exec_lo, s13
	s_delay_alu instid0(SALU_CYCLE_1)
	s_mov_b32 s13, exec_lo
	v_cmpx_gt_i64_e64 s[4:5], v[10:11]
	s_cbranch_execz .LBB16_12
.LBB16_11:                              ;   in Loop: Header=BB16_8 Depth=1
	v_lshrrev_b32_e32 v4, 11, v4
	s_delay_alu instid0(VALU_DEP_1) | instskip(SKIP_1) | instid1(VALU_DEP_2)
	v_cvt_f64_u32_e32 v[43:44], v4
	v_cvt_f64_u32_e32 v[3:4], v3
	v_ldexp_f64 v[43:44], v[43:44], 32
	s_delay_alu instid0(VALU_DEP_1) | instskip(NEXT) | instid1(VALU_DEP_1)
	v_add_f64 v[3:4], v[43:44], v[3:4]
	v_fma_f64 v[3:4], 0x3ca00000, v[3:4], 0x3ca00000
	s_delay_alu instid0(VALU_DEP_1) | instskip(NEXT) | instid1(VALU_DEP_1)
	v_cvt_f32_f64_e32 v3, v[3:4]
	v_cmp_gt_f32_e32 vcc_lo, 0x800000, v3
	v_cndmask_b32_e64 v4, 1.0, 0x4f800000, vcc_lo
	s_delay_alu instid0(VALU_DEP_1) | instskip(NEXT) | instid1(VALU_DEP_1)
	v_mul_f32_e32 v3, v3, v4
	v_log_f32_e32 v3, v3
	s_waitcnt_depctr 0xfff
	v_mul_f32_e32 v4, 0x3f317217, v3
	s_delay_alu instid0(VALU_DEP_1) | instskip(NEXT) | instid1(VALU_DEP_1)
	v_fma_f32 v7, 0x3f317217, v3, -v4
	v_fmac_f32_e32 v7, 0x3377d1cf, v3
	s_delay_alu instid0(VALU_DEP_1) | instskip(SKIP_2) | instid1(VALU_DEP_3)
	v_add_f32_e32 v4, v4, v7
	v_cndmask_b32_e64 v7, 0, 0x41b17218, vcc_lo
	v_cmp_gt_f32_e64 vcc_lo, 0x7f800000, |v3|
	v_cndmask_b32_e32 v3, v3, v4, vcc_lo
	s_delay_alu instid0(VALU_DEP_1) | instskip(NEXT) | instid1(VALU_DEP_1)
	v_sub_f32_e32 v3, v3, v7
	v_div_scale_f32 v4, null, v32, v32, v3
	s_delay_alu instid0(VALU_DEP_1) | instskip(SKIP_2) | instid1(VALU_DEP_1)
	v_rcp_f32_e32 v7, v4
	s_waitcnt_depctr 0xfff
	v_fma_f32 v13, -v4, v7, 1.0
	v_fmac_f32_e32 v7, v13, v7
	v_div_scale_f32 v13, vcc_lo, v3, v32, v3
	s_delay_alu instid0(VALU_DEP_1) | instskip(NEXT) | instid1(VALU_DEP_1)
	v_mul_f32_e32 v43, v13, v7
	v_fma_f32 v44, -v4, v43, v13
	s_delay_alu instid0(VALU_DEP_1) | instskip(NEXT) | instid1(VALU_DEP_1)
	v_fmac_f32_e32 v43, v44, v7
	v_fma_f32 v4, -v4, v43, v13
	s_delay_alu instid0(VALU_DEP_1) | instskip(SKIP_1) | instid1(VALU_DEP_2)
	v_div_fmas_f32 v4, v4, v7, v43
	v_add_nc_u32_e32 v7, s12, v37
	v_div_fixup_f32 v3, v4, v32, v3
	s_delay_alu instid0(VALU_DEP_2) | instskip(NEXT) | instid1(VALU_DEP_2)
	v_ashrrev_i32_e32 v4, 31, v7
	v_ceil_f32_e32 v13, v3
	v_add_co_u32 v3, vcc_lo, s6, v7
	s_delay_alu instid0(VALU_DEP_3) | instskip(NEXT) | instid1(VALU_DEP_3)
	v_add_co_ci_u32_e32 v4, vcc_lo, s7, v4, vcc_lo
	v_cvt_i32_f32_e32 v7, v13
	global_store_b16 v[3:4], v7, off
.LBB16_12:                              ;   in Loop: Header=BB16_8 Depth=1
	s_or_b32 exec_lo, exec_lo, s13
	v_add_co_u32 v3, vcc_lo, s8, v10
	v_add_co_ci_u32_e32 v4, vcc_lo, 0, v11, vcc_lo
	s_mov_b32 s13, exec_lo
	s_delay_alu instid0(VALU_DEP_1)
	v_cmpx_gt_i64_e64 s[4:5], v[3:4]
	s_cbranch_execz .LBB16_14
; %bb.13:                               ;   in Loop: Header=BB16_8 Depth=1
	v_lshrrev_b32_e32 v3, 11, v6
	v_cvt_f64_u32_e32 v[5:6], v5
	s_delay_alu instid0(VALU_DEP_2) | instskip(NEXT) | instid1(VALU_DEP_1)
	v_cvt_f64_u32_e32 v[3:4], v3
	v_ldexp_f64 v[3:4], v[3:4], 32
	s_delay_alu instid0(VALU_DEP_1) | instskip(NEXT) | instid1(VALU_DEP_1)
	v_add_f64 v[3:4], v[3:4], v[5:6]
	v_fma_f64 v[3:4], 0x3ca00000, v[3:4], 0x3ca00000
	s_delay_alu instid0(VALU_DEP_1) | instskip(NEXT) | instid1(VALU_DEP_1)
	v_cvt_f32_f64_e32 v3, v[3:4]
	v_cmp_gt_f32_e32 vcc_lo, 0x800000, v3
	v_cndmask_b32_e64 v4, 1.0, 0x4f800000, vcc_lo
	s_delay_alu instid0(VALU_DEP_1) | instskip(NEXT) | instid1(VALU_DEP_1)
	v_mul_f32_e32 v3, v3, v4
	v_log_f32_e32 v3, v3
	s_waitcnt_depctr 0xfff
	v_mul_f32_e32 v4, 0x3f317217, v3
	s_delay_alu instid0(VALU_DEP_1) | instskip(NEXT) | instid1(VALU_DEP_1)
	v_fma_f32 v5, 0x3f317217, v3, -v4
	v_fmac_f32_e32 v5, 0x3377d1cf, v3
	s_delay_alu instid0(VALU_DEP_1) | instskip(SKIP_2) | instid1(VALU_DEP_3)
	v_add_f32_e32 v4, v4, v5
	v_cndmask_b32_e64 v5, 0, 0x41b17218, vcc_lo
	v_cmp_gt_f32_e64 vcc_lo, 0x7f800000, |v3|
	v_cndmask_b32_e32 v3, v3, v4, vcc_lo
	s_delay_alu instid0(VALU_DEP_1) | instskip(NEXT) | instid1(VALU_DEP_1)
	v_sub_f32_e32 v3, v3, v5
	v_div_scale_f32 v4, null, v32, v32, v3
	s_delay_alu instid0(VALU_DEP_1) | instskip(SKIP_2) | instid1(VALU_DEP_1)
	v_rcp_f32_e32 v5, v4
	s_waitcnt_depctr 0xfff
	v_fma_f32 v6, -v4, v5, 1.0
	v_fmac_f32_e32 v5, v6, v5
	v_div_scale_f32 v6, vcc_lo, v3, v32, v3
	s_delay_alu instid0(VALU_DEP_1) | instskip(NEXT) | instid1(VALU_DEP_1)
	v_mul_f32_e32 v7, v6, v5
	v_fma_f32 v13, -v4, v7, v6
	s_delay_alu instid0(VALU_DEP_1) | instskip(NEXT) | instid1(VALU_DEP_1)
	v_fmac_f32_e32 v7, v13, v5
	v_fma_f32 v4, -v4, v7, v6
	s_delay_alu instid0(VALU_DEP_1) | instskip(SKIP_1) | instid1(VALU_DEP_2)
	v_div_fmas_f32 v4, v4, v5, v7
	v_add_nc_u32_e32 v5, s12, v40
	v_div_fixup_f32 v3, v4, v32, v3
	s_delay_alu instid0(VALU_DEP_2) | instskip(NEXT) | instid1(VALU_DEP_2)
	v_ashrrev_i32_e32 v4, 31, v5
	v_ceil_f32_e32 v6, v3
	v_add_co_u32 v3, vcc_lo, s6, v5
	s_delay_alu instid0(VALU_DEP_3) | instskip(NEXT) | instid1(VALU_DEP_3)
	v_add_co_ci_u32_e32 v4, vcc_lo, s7, v4, vcc_lo
	v_cvt_i32_f32_e32 v5, v6
	global_store_b16 v[3:4], v5, off
.LBB16_14:                              ;   in Loop: Header=BB16_8 Depth=1
	s_or_b32 exec_lo, exec_lo, s13
	v_add_co_u32 v3, vcc_lo, s1, v10
	v_add_co_ci_u32_e32 v4, vcc_lo, 0, v11, vcc_lo
	s_mov_b32 s13, exec_lo
	s_delay_alu instid0(VALU_DEP_1)
	v_cmpx_gt_i64_e64 s[4:5], v[3:4]
	s_cbranch_execz .LBB16_16
; %bb.15:                               ;   in Loop: Header=BB16_8 Depth=1
	v_add_nc_u32_e32 v3, s12, v39
	s_delay_alu instid0(VALU_DEP_1) | instskip(SKIP_1) | instid1(VALU_DEP_2)
	v_ashrrev_i32_e32 v4, 31, v3
	v_add_co_u32 v3, vcc_lo, s6, v3
	v_add_co_ci_u32_e32 v4, vcc_lo, s7, v4, vcc_lo
	global_store_b16 v[3:4], v41, off
.LBB16_16:                              ;   in Loop: Header=BB16_8 Depth=1
	s_or_b32 exec_lo, exec_lo, s13
	v_add_co_u32 v3, vcc_lo, s10, v10
	v_add_co_ci_u32_e32 v4, vcc_lo, 0, v11, vcc_lo
	s_mov_b32 s13, exec_lo
	s_delay_alu instid0(VALU_DEP_1)
	v_cmpx_gt_i64_e64 s[4:5], v[3:4]
	s_cbranch_execz .LBB16_7
; %bb.17:                               ;   in Loop: Header=BB16_8 Depth=1
	v_add_nc_u32_e32 v3, s12, v38
	s_delay_alu instid0(VALU_DEP_1) | instskip(SKIP_1) | instid1(VALU_DEP_2)
	v_ashrrev_i32_e32 v4, 31, v3
	v_add_co_u32 v3, vcc_lo, s6, v3
	v_add_co_ci_u32_e32 v4, vcc_lo, s7, v4, vcc_lo
	global_store_b16 v[3:4], v41, off
	s_branch .LBB16_7
.LBB16_18:                              ;   in Loop: Header=BB16_8 Depth=1
	s_mov_b32 s14, exec_lo
	v_cmpx_lt_i32_e32 2, v14
	s_xor_b32 s14, exec_lo, s14
; %bb.19:                               ;   in Loop: Header=BB16_8 Depth=1
	v_dual_mov_b32 v4, v6 :: v_dual_mov_b32 v5, v0
	v_mov_b32_e32 v6, v1
	s_delay_alu instid0(VALU_DEP_2) | instskip(NEXT) | instid1(VALU_DEP_3)
	v_mov_b32_e32 v3, v4
	v_mov_b32_e32 v4, v5
	s_delay_alu instid0(VALU_DEP_3)
	v_mov_b32_e32 v5, v6
	v_mov_b32_e32 v6, v7
; %bb.20:                               ;   in Loop: Header=BB16_8 Depth=1
	s_and_not1_saveexec_b32 s14, s14
; %bb.21:                               ;   in Loop: Header=BB16_8 Depth=1
	s_delay_alu instid0(VALU_DEP_1)
	v_dual_mov_b32 v3, v5 :: v_dual_mov_b32 v4, v6
	v_dual_mov_b32 v5, v0 :: v_dual_mov_b32 v6, v1
; %bb.22:                               ;   in Loop: Header=BB16_8 Depth=1
	s_or_b32 exec_lo, exec_lo, s14
	s_and_not1_saveexec_b32 s13, s13
	s_cbranch_execz .LBB16_10
.LBB16_23:                              ;   in Loop: Header=BB16_8 Depth=1
	s_mov_b32 s14, exec_lo
	v_cmpx_eq_u32_e32 1, v14
; %bb.24:                               ;   in Loop: Header=BB16_8 Depth=1
	v_dual_mov_b32 v3, v4 :: v_dual_mov_b32 v4, v5
	v_dual_mov_b32 v5, v6 :: v_dual_mov_b32 v6, v0
; %bb.25:                               ;   in Loop: Header=BB16_8 Depth=1
	s_or_b32 exec_lo, exec_lo, s14
	s_delay_alu instid0(SALU_CYCLE_1) | instskip(NEXT) | instid1(SALU_CYCLE_1)
	s_or_b32 exec_lo, exec_lo, s13
	s_mov_b32 s13, exec_lo
	v_cmpx_gt_i64_e64 s[4:5], v[10:11]
	s_cbranch_execnz .LBB16_11
	s_branch .LBB16_12
.LBB16_26:
	s_endpgm
.LBB16_27:
                                        ; implicit-def: $sgpr2_sgpr3
	s_branch .LBB16_4
	.section	.rodata,"a",@progbits
	.p2align	6, 0x0
	.amdhsa_kernel _ZN2at6native12_GLOBAL__N_143distribution_elementwise_grid_stride_kernelIfLi4EZNS0_9templates4cuda21uniform_and_transformIsfPNS_17CUDAGeneratorImplEZZZNS4_16geometric_kernelIS7_EEvRNS_18TensorIteratorBaseEdT_ENKUlvE_clEvENKUlvE3_clEvEUlfE_EEvSA_T1_T2_EUlP25hiprandStatePhilox4_32_10E_ZNS1_27distribution_nullary_kernelIsf15HIP_vector_typeIdLj2EES7_SJ_SE_EEvSA_SG_RKT3_T4_EUlifE_EEvlNS_15PhiloxCudaStateESF_SG_
		.amdhsa_group_segment_fixed_size 0
		.amdhsa_private_segment_fixed_size 0
		.amdhsa_kernarg_size 328
		.amdhsa_user_sgpr_count 15
		.amdhsa_user_sgpr_dispatch_ptr 0
		.amdhsa_user_sgpr_queue_ptr 0
		.amdhsa_user_sgpr_kernarg_segment_ptr 1
		.amdhsa_user_sgpr_dispatch_id 0
		.amdhsa_user_sgpr_private_segment_size 0
		.amdhsa_wavefront_size32 1
		.amdhsa_uses_dynamic_stack 0
		.amdhsa_enable_private_segment 0
		.amdhsa_system_sgpr_workgroup_id_x 1
		.amdhsa_system_sgpr_workgroup_id_y 0
		.amdhsa_system_sgpr_workgroup_id_z 0
		.amdhsa_system_sgpr_workgroup_info 0
		.amdhsa_system_vgpr_workitem_id 0
		.amdhsa_next_free_vgpr 48
		.amdhsa_next_free_sgpr 23
		.amdhsa_reserve_vcc 1
		.amdhsa_float_round_mode_32 0
		.amdhsa_float_round_mode_16_64 0
		.amdhsa_float_denorm_mode_32 3
		.amdhsa_float_denorm_mode_16_64 3
		.amdhsa_dx10_clamp 1
		.amdhsa_ieee_mode 1
		.amdhsa_fp16_overflow 0
		.amdhsa_workgroup_processor_mode 1
		.amdhsa_memory_ordered 1
		.amdhsa_forward_progress 0
		.amdhsa_shared_vgpr_count 0
		.amdhsa_exception_fp_ieee_invalid_op 0
		.amdhsa_exception_fp_denorm_src 0
		.amdhsa_exception_fp_ieee_div_zero 0
		.amdhsa_exception_fp_ieee_overflow 0
		.amdhsa_exception_fp_ieee_underflow 0
		.amdhsa_exception_fp_ieee_inexact 0
		.amdhsa_exception_int_div_zero 0
	.end_amdhsa_kernel
	.section	.text._ZN2at6native12_GLOBAL__N_143distribution_elementwise_grid_stride_kernelIfLi4EZNS0_9templates4cuda21uniform_and_transformIsfPNS_17CUDAGeneratorImplEZZZNS4_16geometric_kernelIS7_EEvRNS_18TensorIteratorBaseEdT_ENKUlvE_clEvENKUlvE3_clEvEUlfE_EEvSA_T1_T2_EUlP25hiprandStatePhilox4_32_10E_ZNS1_27distribution_nullary_kernelIsf15HIP_vector_typeIdLj2EES7_SJ_SE_EEvSA_SG_RKT3_T4_EUlifE_EEvlNS_15PhiloxCudaStateESF_SG_,"axG",@progbits,_ZN2at6native12_GLOBAL__N_143distribution_elementwise_grid_stride_kernelIfLi4EZNS0_9templates4cuda21uniform_and_transformIsfPNS_17CUDAGeneratorImplEZZZNS4_16geometric_kernelIS7_EEvRNS_18TensorIteratorBaseEdT_ENKUlvE_clEvENKUlvE3_clEvEUlfE_EEvSA_T1_T2_EUlP25hiprandStatePhilox4_32_10E_ZNS1_27distribution_nullary_kernelIsf15HIP_vector_typeIdLj2EES7_SJ_SE_EEvSA_SG_RKT3_T4_EUlifE_EEvlNS_15PhiloxCudaStateESF_SG_,comdat
.Lfunc_end16:
	.size	_ZN2at6native12_GLOBAL__N_143distribution_elementwise_grid_stride_kernelIfLi4EZNS0_9templates4cuda21uniform_and_transformIsfPNS_17CUDAGeneratorImplEZZZNS4_16geometric_kernelIS7_EEvRNS_18TensorIteratorBaseEdT_ENKUlvE_clEvENKUlvE3_clEvEUlfE_EEvSA_T1_T2_EUlP25hiprandStatePhilox4_32_10E_ZNS1_27distribution_nullary_kernelIsf15HIP_vector_typeIdLj2EES7_SJ_SE_EEvSA_SG_RKT3_T4_EUlifE_EEvlNS_15PhiloxCudaStateESF_SG_, .Lfunc_end16-_ZN2at6native12_GLOBAL__N_143distribution_elementwise_grid_stride_kernelIfLi4EZNS0_9templates4cuda21uniform_and_transformIsfPNS_17CUDAGeneratorImplEZZZNS4_16geometric_kernelIS7_EEvRNS_18TensorIteratorBaseEdT_ENKUlvE_clEvENKUlvE3_clEvEUlfE_EEvSA_T1_T2_EUlP25hiprandStatePhilox4_32_10E_ZNS1_27distribution_nullary_kernelIsf15HIP_vector_typeIdLj2EES7_SJ_SE_EEvSA_SG_RKT3_T4_EUlifE_EEvlNS_15PhiloxCudaStateESF_SG_
                                        ; -- End function
	.section	.AMDGPU.csdata,"",@progbits
; Kernel info:
; codeLenInByte = 4180
; NumSgprs: 25
; NumVgprs: 48
; ScratchSize: 0
; MemoryBound: 0
; FloatMode: 240
; IeeeMode: 1
; LDSByteSize: 0 bytes/workgroup (compile time only)
; SGPRBlocks: 3
; VGPRBlocks: 5
; NumSGPRsForWavesPerEU: 25
; NumVGPRsForWavesPerEU: 48
; Occupancy: 16
; WaveLimiterHint : 0
; COMPUTE_PGM_RSRC2:SCRATCH_EN: 0
; COMPUTE_PGM_RSRC2:USER_SGPR: 15
; COMPUTE_PGM_RSRC2:TRAP_HANDLER: 0
; COMPUTE_PGM_RSRC2:TGID_X_EN: 1
; COMPUTE_PGM_RSRC2:TGID_Y_EN: 0
; COMPUTE_PGM_RSRC2:TGID_Z_EN: 0
; COMPUTE_PGM_RSRC2:TIDIG_COMP_CNT: 0
	.section	.text._ZN2at6native12_GLOBAL__N_143distribution_elementwise_grid_stride_kernelIfLi4EZNS0_9templates4cuda21uniform_and_transformIsfPNS_17CUDAGeneratorImplEZZZNS4_16geometric_kernelIS7_EEvRNS_18TensorIteratorBaseEdT_ENKUlvE_clEvENKUlvE3_clEvEUlfE_EEvSA_T1_T2_EUlP25hiprandStatePhilox4_32_10E_ZNS1_27distribution_nullary_kernelIsf15HIP_vector_typeIdLj2EES7_SJ_SE_EEvSA_SG_RKT3_T4_EUlifE0_EEvlNS_15PhiloxCudaStateESF_SG_,"axG",@progbits,_ZN2at6native12_GLOBAL__N_143distribution_elementwise_grid_stride_kernelIfLi4EZNS0_9templates4cuda21uniform_and_transformIsfPNS_17CUDAGeneratorImplEZZZNS4_16geometric_kernelIS7_EEvRNS_18TensorIteratorBaseEdT_ENKUlvE_clEvENKUlvE3_clEvEUlfE_EEvSA_T1_T2_EUlP25hiprandStatePhilox4_32_10E_ZNS1_27distribution_nullary_kernelIsf15HIP_vector_typeIdLj2EES7_SJ_SE_EEvSA_SG_RKT3_T4_EUlifE0_EEvlNS_15PhiloxCudaStateESF_SG_,comdat
	.globl	_ZN2at6native12_GLOBAL__N_143distribution_elementwise_grid_stride_kernelIfLi4EZNS0_9templates4cuda21uniform_and_transformIsfPNS_17CUDAGeneratorImplEZZZNS4_16geometric_kernelIS7_EEvRNS_18TensorIteratorBaseEdT_ENKUlvE_clEvENKUlvE3_clEvEUlfE_EEvSA_T1_T2_EUlP25hiprandStatePhilox4_32_10E_ZNS1_27distribution_nullary_kernelIsf15HIP_vector_typeIdLj2EES7_SJ_SE_EEvSA_SG_RKT3_T4_EUlifE0_EEvlNS_15PhiloxCudaStateESF_SG_ ; -- Begin function _ZN2at6native12_GLOBAL__N_143distribution_elementwise_grid_stride_kernelIfLi4EZNS0_9templates4cuda21uniform_and_transformIsfPNS_17CUDAGeneratorImplEZZZNS4_16geometric_kernelIS7_EEvRNS_18TensorIteratorBaseEdT_ENKUlvE_clEvENKUlvE3_clEvEUlfE_EEvSA_T1_T2_EUlP25hiprandStatePhilox4_32_10E_ZNS1_27distribution_nullary_kernelIsf15HIP_vector_typeIdLj2EES7_SJ_SE_EEvSA_SG_RKT3_T4_EUlifE0_EEvlNS_15PhiloxCudaStateESF_SG_
	.p2align	8
	.type	_ZN2at6native12_GLOBAL__N_143distribution_elementwise_grid_stride_kernelIfLi4EZNS0_9templates4cuda21uniform_and_transformIsfPNS_17CUDAGeneratorImplEZZZNS4_16geometric_kernelIS7_EEvRNS_18TensorIteratorBaseEdT_ENKUlvE_clEvENKUlvE3_clEvEUlfE_EEvSA_T1_T2_EUlP25hiprandStatePhilox4_32_10E_ZNS1_27distribution_nullary_kernelIsf15HIP_vector_typeIdLj2EES7_SJ_SE_EEvSA_SG_RKT3_T4_EUlifE0_EEvlNS_15PhiloxCudaStateESF_SG_,@function
_ZN2at6native12_GLOBAL__N_143distribution_elementwise_grid_stride_kernelIfLi4EZNS0_9templates4cuda21uniform_and_transformIsfPNS_17CUDAGeneratorImplEZZZNS4_16geometric_kernelIS7_EEvRNS_18TensorIteratorBaseEdT_ENKUlvE_clEvENKUlvE3_clEvEUlfE_EEvSA_T1_T2_EUlP25hiprandStatePhilox4_32_10E_ZNS1_27distribution_nullary_kernelIsf15HIP_vector_typeIdLj2EES7_SJ_SE_EEvSA_SG_RKT3_T4_EUlifE0_EEvlNS_15PhiloxCudaStateESF_SG_: ; @_ZN2at6native12_GLOBAL__N_143distribution_elementwise_grid_stride_kernelIfLi4EZNS0_9templates4cuda21uniform_and_transformIsfPNS_17CUDAGeneratorImplEZZZNS4_16geometric_kernelIS7_EEvRNS_18TensorIteratorBaseEdT_ENKUlvE_clEvENKUlvE3_clEvEUlfE_EEvSA_T1_T2_EUlP25hiprandStatePhilox4_32_10E_ZNS1_27distribution_nullary_kernelIsf15HIP_vector_typeIdLj2EES7_SJ_SE_EEvSA_SG_RKT3_T4_EUlifE0_EEvlNS_15PhiloxCudaStateESF_SG_
; %bb.0:
	s_clause 0x2
	s_load_b64 s[4:5], s[0:1], 0x10
	s_load_b128 s[16:19], s[0:1], 0x0
	s_load_b32 s2, s[0:1], 0x20
	s_waitcnt lgkmcnt(0)
	v_dual_mov_b32 v2, s4 :: v_dual_mov_b32 v3, s5
	v_dual_mov_b32 v8, s18 :: v_dual_mov_b32 v9, s19
	s_bitcmp0_b32 s2, 0
	s_mov_b32 s2, 0
	s_cbranch_scc1 .LBB17_2
; %bb.1:
	v_dual_mov_b32 v1, s4 :: v_dual_mov_b32 v2, s5
	v_dual_mov_b32 v4, s18 :: v_dual_mov_b32 v5, s19
	s_load_b64 s[4:5], s[0:1], 0x18
	flat_load_b64 v[2:3], v[1:2]
	flat_load_b64 v[8:9], v[4:5]
	s_waitcnt vmcnt(1) lgkmcnt(0)
	v_add_co_u32 v2, vcc_lo, v2, s4
	v_add_co_ci_u32_e32 v3, vcc_lo, s5, v3, vcc_lo
.LBB17_2:
	s_clause 0x1
	s_load_b32 s3, s[0:1], 0x154
	s_load_b32 s4, s[0:1], 0x148
	s_waitcnt lgkmcnt(0)
	s_and_b32 s5, s3, 0xffff
	s_add_u32 s6, s16, -1
	s_mul_i32 s24, s4, s5
	s_addc_u32 s3, s17, -1
	s_lshl_b32 s25, s24, 2
	s_cmp_lg_u64 s[2:3], 0
	s_cbranch_scc0 .LBB17_79
; %bb.3:
	v_cvt_f32_ubyte0_e32 v1, 0
	v_cvt_f32_u32_e32 v4, s25
	s_sub_u32 s8, 0, s25
	s_subb_u32 s9, 0, 0
	s_delay_alu instid0(VALU_DEP_1) | instskip(NEXT) | instid1(VALU_DEP_1)
	v_fmamk_f32 v1, v1, 0x4f800000, v4
	v_rcp_f32_e32 v1, v1
	s_waitcnt_depctr 0xfff
	v_mul_f32_e32 v1, 0x5f7ffffc, v1
	s_delay_alu instid0(VALU_DEP_1) | instskip(NEXT) | instid1(VALU_DEP_1)
	v_mul_f32_e32 v4, 0x2f800000, v1
	v_trunc_f32_e32 v4, v4
	s_delay_alu instid0(VALU_DEP_1) | instskip(SKIP_1) | instid1(VALU_DEP_2)
	v_fmamk_f32 v1, v4, 0xcf800000, v1
	v_cvt_u32_f32_e32 v4, v4
	v_cvt_u32_f32_e32 v1, v1
	s_delay_alu instid0(VALU_DEP_2) | instskip(NEXT) | instid1(VALU_DEP_2)
	v_readfirstlane_b32 s2, v4
	v_readfirstlane_b32 s7, v1
	s_delay_alu instid0(VALU_DEP_2) | instskip(NEXT) | instid1(VALU_DEP_1)
	s_mul_i32 s10, s8, s2
	s_mul_hi_u32 s12, s8, s7
	s_mul_i32 s11, s9, s7
	s_add_i32 s10, s12, s10
	s_mul_i32 s13, s8, s7
	s_add_i32 s10, s10, s11
	s_mul_hi_u32 s12, s7, s13
	s_mul_hi_u32 s14, s2, s13
	s_mul_i32 s11, s2, s13
	s_mul_hi_u32 s13, s7, s10
	s_mul_i32 s7, s7, s10
	s_mul_hi_u32 s18, s2, s10
	s_add_u32 s7, s12, s7
	s_addc_u32 s12, 0, s13
	s_add_u32 s7, s7, s11
	s_mul_i32 s10, s2, s10
	s_addc_u32 s7, s12, s14
	s_addc_u32 s11, s18, 0
	s_add_u32 s7, s7, s10
	s_addc_u32 s10, 0, s11
	v_add_co_u32 v1, s7, v1, s7
	s_delay_alu instid0(VALU_DEP_1) | instskip(SKIP_1) | instid1(VALU_DEP_1)
	s_cmp_lg_u32 s7, 0
	s_addc_u32 s2, s2, s10
	v_readfirstlane_b32 s7, v1
	s_mul_i32 s10, s8, s2
	s_delay_alu instid0(VALU_DEP_1)
	s_mul_hi_u32 s11, s8, s7
	s_mul_i32 s9, s9, s7
	s_add_i32 s10, s11, s10
	s_mul_i32 s8, s8, s7
	s_add_i32 s10, s10, s9
	s_mul_hi_u32 s11, s2, s8
	s_mul_i32 s12, s2, s8
	s_mul_hi_u32 s8, s7, s8
	s_mul_hi_u32 s13, s7, s10
	s_mul_i32 s7, s7, s10
	s_mul_hi_u32 s9, s2, s10
	s_add_u32 s7, s8, s7
	s_addc_u32 s8, 0, s13
	s_add_u32 s7, s7, s12
	s_mul_i32 s10, s2, s10
	s_addc_u32 s7, s8, s11
	s_addc_u32 s8, s9, 0
	s_add_u32 s7, s7, s10
	s_addc_u32 s8, 0, s8
	v_add_co_u32 v1, s7, v1, s7
	s_delay_alu instid0(VALU_DEP_1) | instskip(SKIP_2) | instid1(VALU_DEP_1)
	s_cmp_lg_u32 s7, 0
	s_addc_u32 s7, s2, s8
	s_ashr_i32 s8, s3, 31
	v_readfirstlane_b32 s10, v1
	s_add_u32 s2, s6, s8
	s_mov_b32 s9, s8
	s_addc_u32 s3, s3, s8
	s_delay_alu instid0(SALU_CYCLE_1) | instskip(NEXT) | instid1(SALU_CYCLE_1)
	s_xor_b64 s[2:3], s[2:3], s[8:9]
	s_mul_i32 s12, s2, s7
	s_mul_hi_u32 s13, s2, s10
	s_mul_hi_u32 s11, s2, s7
	;; [unrolled: 1-line block ×3, first 2 shown]
	s_mul_i32 s10, s3, s10
	s_add_u32 s12, s13, s12
	s_addc_u32 s11, 0, s11
	s_mul_hi_u32 s14, s3, s7
	s_add_u32 s10, s12, s10
	s_mul_i32 s7, s3, s7
	s_addc_u32 s10, s11, s18
	s_addc_u32 s11, s14, 0
	s_add_u32 s7, s10, s7
	s_addc_u32 s10, 0, s11
	s_mul_i32 s12, s25, s7
	s_add_u32 s11, s7, 1
	v_sub_co_u32 v1, s2, s2, s12
	s_mul_hi_u32 s12, s25, s7
	s_addc_u32 s13, s10, 0
	s_mul_i32 s14, s25, s10
	s_delay_alu instid0(VALU_DEP_1)
	v_sub_co_u32 v4, s18, v1, s25
	s_add_u32 s19, s7, 2
	s_addc_u32 s20, s10, 0
	s_add_i32 s12, s12, s14
	s_cmp_lg_u32 s2, 0
	v_readfirstlane_b32 s2, v4
	s_subb_u32 s3, s3, s12
	s_cmp_lg_u32 s18, 0
	s_subb_u32 s12, s3, 0
	s_delay_alu instid0(VALU_DEP_1) | instskip(SKIP_4) | instid1(SALU_CYCLE_1)
	s_cmp_ge_u32 s2, s25
	s_cselect_b32 s2, -1, 0
	s_cmp_eq_u32 s12, 0
	v_readfirstlane_b32 s12, v1
	s_cselect_b32 s2, s2, -1
	s_cmp_lg_u32 s2, 0
	s_cselect_b32 s2, s19, s11
	s_cselect_b32 s11, s20, s13
	s_cmp_ge_u32 s12, s25
	s_cselect_b32 s12, -1, 0
	s_cmp_eq_u32 s3, 0
	s_cselect_b32 s3, s12, -1
	s_delay_alu instid0(SALU_CYCLE_1) | instskip(SKIP_2) | instid1(SALU_CYCLE_1)
	s_cmp_lg_u32 s3, 0
	s_cselect_b32 s3, s11, s10
	s_cselect_b32 s2, s2, s7
	s_xor_b64 s[2:3], s[2:3], s[8:9]
	s_delay_alu instid0(SALU_CYCLE_1)
	s_sub_u32 s2, s2, s8
	s_subb_u32 s3, s3, s8
	s_cbranch_execnz .LBB17_5
.LBB17_4:
	v_cvt_f32_u32_e32 v1, s25
	s_sub_i32 s3, 0, s25
	s_delay_alu instid0(VALU_DEP_1) | instskip(SKIP_2) | instid1(VALU_DEP_1)
	v_rcp_iflag_f32_e32 v1, v1
	s_waitcnt_depctr 0xfff
	v_mul_f32_e32 v1, 0x4f7ffffe, v1
	v_cvt_u32_f32_e32 v1, v1
	s_delay_alu instid0(VALU_DEP_1) | instskip(NEXT) | instid1(VALU_DEP_1)
	v_readfirstlane_b32 s2, v1
	s_mul_i32 s3, s3, s2
	s_delay_alu instid0(SALU_CYCLE_1) | instskip(NEXT) | instid1(SALU_CYCLE_1)
	s_mul_hi_u32 s3, s2, s3
	s_add_i32 s2, s2, s3
	s_delay_alu instid0(SALU_CYCLE_1) | instskip(NEXT) | instid1(SALU_CYCLE_1)
	s_mul_hi_u32 s2, s6, s2
	s_mul_i32 s3, s2, s25
	s_delay_alu instid0(SALU_CYCLE_1)
	s_sub_i32 s3, s6, s3
	s_add_i32 s6, s2, 1
	s_sub_i32 s7, s3, s25
	s_cmp_ge_u32 s3, s25
	s_cselect_b32 s2, s6, s2
	s_cselect_b32 s3, s7, s3
	s_add_i32 s6, s2, 1
	s_cmp_ge_u32 s3, s25
	s_mov_b32 s3, 0
	s_cselect_b32 s2, s6, s2
.LBB17_5:
	v_mov_b32_e32 v1, 0
	s_add_u32 s2, s2, 1
	s_addc_u32 s3, s3, 0
	s_mul_hi_u32 s6, s24, s2
	s_mul_i32 s3, s24, s3
	v_mad_u64_u32 v[10:11], null, s5, s15, v[0:1]
	s_mul_hi_u32 s4, s4, s5
	s_add_i32 s3, s6, s3
	s_mul_i32 s4, s4, s2
	s_mul_i32 s2, s24, s2
	s_add_i32 s3, s3, s4
	s_mov_b32 s4, exec_lo
	s_lshl_b64 s[2:3], s[2:3], 2
	s_delay_alu instid0(SALU_CYCLE_1)
	v_cmpx_gt_i64_e64 s[2:3], v[10:11]
	s_cbranch_execz .LBB17_78
; %bb.6:
	s_load_b128 s[12:15], s[0:1], 0x138
	s_mov_b32 s4, 0x3e9b6dac
	v_alignbit_b32 v22, v3, v2, 2
	v_lshrrev_b32_e32 v23, 2, v3
	v_log_f32_e32 v34, s0
	s_waitcnt vmcnt(0)
	v_add_co_u32 v21, null, 0x9e3779b9, v8
	v_add_co_u32 v24, null, 0x3c6ef372, v8
	;; [unrolled: 1-line block ×7, first 2 shown]
	s_add_u32 s18, s0, 48
	s_waitcnt lgkmcnt(0)
	v_cvt_f32_f64_e32 v7, s[14:15]
	s_load_b64 s[14:15], s[0:1], 0xf4
	s_addc_u32 s19, s1, 0
	s_mov_b32 s26, 0
	s_mul_i32 s33, s24, 3
	s_delay_alu instid0(VALU_DEP_1) | instskip(NEXT) | instid1(VALU_DEP_1)
	v_sub_f32_e32 v4, 1.0, v7
	v_cvt_f64_f32_e32 v[0:1], v4
	s_delay_alu instid0(VALU_DEP_1) | instskip(SKIP_1) | instid1(VALU_DEP_1)
	v_frexp_exp_i32_f64_e32 v0, v[0:1]
	v_frexp_mant_f32_e32 v1, v4
	v_cmp_gt_f32_e32 vcc_lo, 0x3f2aaaab, v1
	v_add_f32_e32 v1, -1.0, v4
	s_delay_alu instid0(VALU_DEP_1) | instskip(NEXT) | instid1(VALU_DEP_1)
	v_sub_f32_e32 v6, v1, v4
	v_add_f32_e32 v6, 1.0, v6
	v_sub_f32_e64 v1, -v7, v1
	s_delay_alu instid0(VALU_DEP_1) | instskip(SKIP_2) | instid1(VALU_DEP_2)
	v_add_f32_e32 v1, v1, v6
	v_subrev_co_ci_u32_e32 v0, vcc_lo, 0, v0, vcc_lo
	v_cmp_eq_f32_e32 vcc_lo, 0xff800000, v7
	v_sub_nc_u32_e32 v5, 0, v0
	s_delay_alu instid0(VALU_DEP_1) | instskip(SKIP_1) | instid1(VALU_DEP_2)
	v_ldexp_f32 v4, v4, v5
	v_ldexp_f32 v1, v1, v5
	v_add_f32_e32 v5, -1.0, v4
	v_add_f32_e32 v12, 1.0, v4
	s_delay_alu instid0(VALU_DEP_1) | instskip(NEXT) | instid1(VALU_DEP_1)
	v_add_f32_e32 v6, -1.0, v12
	v_dual_sub_f32 v6, v4, v6 :: v_dual_add_f32 v13, 1.0, v5
	s_delay_alu instid0(VALU_DEP_1) | instskip(NEXT) | instid1(VALU_DEP_2)
	v_add_f32_e32 v6, v1, v6
	v_sub_f32_e32 v4, v4, v13
	s_delay_alu instid0(VALU_DEP_1) | instskip(NEXT) | instid1(VALU_DEP_1)
	v_add_f32_e32 v1, v1, v4
	v_add_f32_e32 v14, v5, v1
	s_delay_alu instid0(VALU_DEP_1) | instskip(SKIP_1) | instid1(VALU_DEP_1)
	v_sub_f32_e32 v5, v14, v5
	v_add_f32_e32 v13, v12, v6
	v_rcp_f32_e32 v4, v13
	v_sub_f32_e32 v12, v13, v12
	s_waitcnt_depctr 0xfff
	v_mul_f32_e32 v15, v14, v4
	v_sub_f32_e32 v6, v6, v12
	s_delay_alu instid0(VALU_DEP_2) | instskip(NEXT) | instid1(VALU_DEP_1)
	v_mul_f32_e32 v16, v13, v15
	v_fma_f32 v12, v15, v13, -v16
	s_delay_alu instid0(VALU_DEP_1) | instskip(NEXT) | instid1(VALU_DEP_1)
	v_dual_fmac_f32 v12, v15, v6 :: v_dual_sub_f32 v1, v1, v5
	v_add_f32_e32 v17, v16, v12
	s_delay_alu instid0(VALU_DEP_1) | instskip(NEXT) | instid1(VALU_DEP_1)
	v_dual_sub_f32 v5, v17, v16 :: v_dual_sub_f32 v18, v14, v17
	v_dual_sub_f32 v5, v5, v12 :: v_dual_sub_f32 v14, v14, v18
	s_delay_alu instid0(VALU_DEP_1) | instskip(NEXT) | instid1(VALU_DEP_1)
	v_sub_f32_e32 v14, v14, v17
	v_add_f32_e32 v1, v1, v14
	s_delay_alu instid0(VALU_DEP_1) | instskip(NEXT) | instid1(VALU_DEP_1)
	v_add_f32_e32 v1, v5, v1
	v_add_f32_e32 v5, v18, v1
	s_delay_alu instid0(VALU_DEP_1) | instskip(SKIP_2) | instid1(VALU_DEP_3)
	v_mul_f32_e32 v12, v4, v5
	v_sub_f32_e32 v17, v18, v5
	v_add_co_u32 v18, null, 0x5384540f, v8
	v_mul_f32_e32 v14, v13, v12
	s_delay_alu instid0(VALU_DEP_1) | instskip(NEXT) | instid1(VALU_DEP_1)
	v_fma_f32 v13, v12, v13, -v14
	v_fmac_f32_e32 v13, v12, v6
	s_delay_alu instid0(VALU_DEP_1) | instskip(SKIP_1) | instid1(VALU_DEP_2)
	v_add_f32_e32 v6, v14, v13
	v_add_f32_e32 v1, v1, v17
	v_sub_f32_e32 v16, v5, v6
	s_delay_alu instid0(VALU_DEP_1) | instskip(NEXT) | instid1(VALU_DEP_1)
	v_sub_f32_e32 v5, v5, v16
	v_sub_f32_e32 v5, v5, v6
	s_delay_alu instid0(VALU_DEP_1) | instskip(SKIP_1) | instid1(VALU_DEP_1)
	v_add_f32_e32 v1, v1, v5
	v_dual_add_f32 v5, v15, v12 :: v_dual_sub_f32 v14, v6, v14
	v_sub_f32_e32 v6, v14, v13
	s_delay_alu instid0(VALU_DEP_1) | instskip(NEXT) | instid1(VALU_DEP_3)
	v_dual_mov_b32 v14, v9 :: v_dual_add_f32 v1, v6, v1
	v_sub_f32_e32 v6, v5, v15
	s_delay_alu instid0(VALU_DEP_2) | instskip(SKIP_1) | instid1(VALU_DEP_4)
	v_add_co_u32 v37, null, 0xdb3d7428, v14
	v_and_b32_e32 v15, 3, v2
	v_add_f32_e32 v1, v16, v1
	s_delay_alu instid0(VALU_DEP_4) | instskip(NEXT) | instid1(VALU_DEP_2)
	v_sub_f32_e32 v6, v12, v6
	v_mul_f32_e32 v1, v4, v1
	s_delay_alu instid0(VALU_DEP_1) | instskip(NEXT) | instid1(VALU_DEP_1)
	v_add_f32_e32 v1, v6, v1
	v_add_f32_e32 v4, v5, v1
	s_delay_alu instid0(VALU_DEP_1) | instskip(NEXT) | instid1(VALU_DEP_1)
	v_mul_f32_e32 v6, v4, v4
	v_dual_mul_f32 v13, v4, v6 :: v_dual_add_nc_u32 v16, 0x8ff34781, v8
	v_fmaak_f32 v12, s4, v6, 0x3ecc95a3
	s_load_b256 s[4:11], s[0:1], 0x30
	s_waitcnt lgkmcnt(0)
	v_cmp_gt_f32_e64 s11, 0x33800000, |v7|
	s_delay_alu instid0(VALU_DEP_2) | instskip(SKIP_2) | instid1(VALU_DEP_3)
	v_fmaak_f32 v6, v6, v12, 0x3f2aaada
	v_add_nc_u32_e32 v17, 0x96a522ad, v9
	v_ldexp_f32 v12, v4, 1
	v_mul_f32_e32 v6, v13, v6
	v_cvt_f32_i32_e32 v13, v0
	v_sub_f32_e32 v0, v4, v5
	s_delay_alu instid0(VALU_DEP_2) | instskip(NEXT) | instid1(VALU_DEP_1)
	v_dual_add_f32 v5, v12, v6 :: v_dual_mul_f32 v28, 0x3f317218, v13
	v_sub_f32_e32 v4, v5, v12
	s_delay_alu instid0(VALU_DEP_2) | instskip(SKIP_1) | instid1(SALU_CYCLE_1)
	v_fma_f32 v3, 0x3f317218, v13, -v28
	s_add_i32 s20, s4, -1
	s_cmp_gt_u32 s20, 1
	s_delay_alu instid0(VALU_DEP_2) | instskip(NEXT) | instid1(VALU_DEP_2)
	v_sub_f32_e32 v4, v6, v4
	v_fmamk_f32 v6, v13, 0xb102e308, v3
	v_sub_f32_e32 v2, v1, v0
	v_mad_u64_u32 v[0:1], null, 0xcd9e8d57, v10, 0
	s_delay_alu instid0(VALU_DEP_3) | instskip(NEXT) | instid1(VALU_DEP_3)
	v_add_f32_e32 v13, v28, v6
	v_ldexp_f32 v2, v2, 1
	s_delay_alu instid0(VALU_DEP_3) | instskip(NEXT) | instid1(VALU_DEP_2)
	v_xor3_b32 v1, v8, v1, v23
	v_add_f32_e32 v12, v2, v4
	v_mad_u64_u32 v[2:3], null, 0xd2511f53, v22, 0
	v_sub_f32_e32 v32, v13, v28
	v_add_co_u32 v28, null, 0xbb67ae85, v14
	s_delay_alu instid0(VALU_DEP_4) | instskip(NEXT) | instid1(VALU_DEP_4)
	v_add_f32_e32 v29, v5, v12
	v_xor_b32_e32 v30, v3, v9
	v_mad_u64_u32 v[3:4], null, 0xd2511f53, v1, 0
	s_delay_alu instid0(VALU_DEP_3) | instskip(SKIP_1) | instid1(VALU_DEP_4)
	v_add_f32_e32 v31, v13, v29
	v_sub_f32_e32 v5, v29, v5
	v_xor_b32_e32 v30, v30, v11
	s_delay_alu instid0(VALU_DEP_3) | instskip(NEXT) | instid1(VALU_DEP_3)
	v_sub_f32_e32 v1, v31, v13
	v_sub_f32_e32 v12, v12, v5
	s_delay_alu instid0(VALU_DEP_2) | instskip(SKIP_3) | instid1(VALU_DEP_4)
	v_sub_f32_e32 v33, v31, v1
	v_sub_f32_e32 v5, v29, v1
	v_xor3_b32 v29, v28, v4, v2
	v_mad_u64_u32 v[1:2], null, 0xcd9e8d57, v30, 0
	v_sub_f32_e32 v13, v13, v33
	v_add_co_u32 v30, null, 0x76cf5d0a, v14
	s_delay_alu instid0(VALU_DEP_2) | instskip(SKIP_4) | instid1(VALU_DEP_2)
	v_add_f32_e32 v13, v5, v13
	v_mad_u64_u32 v[4:5], null, 0xcd9e8d57, v29, 0
	v_mov_b32_e32 v29, v10
	v_sub_f32_e32 v6, v6, v32
	v_xor3_b32 v2, v21, v2, v0
	v_add_f32_e32 v32, v6, v12
	v_xor3_b32 v35, v24, v5, v1
	s_delay_alu instid0(VALU_DEP_3) | instskip(NEXT) | instid1(VALU_DEP_3)
	v_mad_u64_u32 v[0:1], null, 0xd2511f53, v2, 0
	v_add_f32_e32 v13, v32, v13
	s_delay_alu instid0(VALU_DEP_1) | instskip(NEXT) | instid1(VALU_DEP_1)
	v_dual_sub_f32 v33, v32, v6 :: v_dual_add_f32 v36, v31, v13
	v_sub_f32_e32 v2, v12, v33
	v_sub_f32_e32 v5, v32, v33
	v_xor3_b32 v3, v30, v1, v3
	v_add_co_u32 v33, null, 0xa9066899, v14
	v_sub_f32_e32 v32, v36, v31
	s_delay_alu instid0(VALU_DEP_4) | instskip(SKIP_2) | instid1(VALU_DEP_3)
	v_sub_f32_e32 v12, v6, v5
	v_mad_u64_u32 v[5:6], null, 0xd2511f53, v35, 0
	v_add_co_u32 v31, null, 0x32370b8f, v14
	v_add_f32_e32 v2, v2, v12
	v_dual_sub_f32 v12, v13, v32 :: v_dual_mul_f32 v13, 0x3f317217, v34
	v_add_co_u32 v32, null, 0xed9eba14, v14
	s_delay_alu instid0(VALU_DEP_4) | instskip(NEXT) | instid1(VALU_DEP_3)
	v_xor3_b32 v6, v31, v6, v0
	v_add_f32_e32 v12, v2, v12
	v_mad_u64_u32 v[0:1], null, 0xcd9e8d57, v3, 0
	v_fma_f32 v35, 0x3f317217, v34, -v13
	s_delay_alu instid0(VALU_DEP_4) | instskip(NEXT) | instid1(VALU_DEP_4)
	v_mad_u64_u32 v[2:3], null, 0xcd9e8d57, v6, 0
	v_add_f32_e32 v6, v36, v12
	v_add_co_u32 v36, null, 0x1fd5c5a3, v14
	v_xor3_b32 v4, v20, v1, v4
	v_fmac_f32_e32 v35, 0x3377d1cf, v34
	s_delay_alu instid0(VALU_DEP_4) | instskip(SKIP_3) | instid1(VALU_DEP_4)
	v_cndmask_b32_e64 v6, v6, -v7, vcc_lo
	v_cmp_nlt_f32_e32 vcc_lo, 1.0, v7
	v_xor3_b32 v12, v25, v3, v0
	v_mad_u64_u32 v[0:1], null, 0xd2511f53, v4, 0
	v_dual_add_f32 v13, v13, v35 :: v_dual_cndmask_b32 v6, 0x7fc00000, v6
	v_cmp_neq_f32_e32 vcc_lo, 1.0, v7
	s_delay_alu instid0(VALU_DEP_4) | instskip(SKIP_1) | instid1(VALU_DEP_4)
	v_mad_u64_u32 v[3:4], null, 0xd2511f53, v12, 0
	v_add_co_u32 v35, null, 0x646e171e, v14
	v_cndmask_b32_e32 v6, 0xff800000, v6, vcc_lo
	v_cmp_gt_f32_e64 vcc_lo, 0x7f800000, |v34|
	v_xor3_b32 v1, v32, v1, v5
	v_xor3_b32 v4, v33, v4, v0
	v_cndmask_b32_e32 v40, v34, v13, vcc_lo
	v_cndmask_b32_e64 v34, v6, -v7, s11
	s_delay_alu instid0(VALU_DEP_4) | instskip(NEXT) | instid1(VALU_DEP_4)
	v_mad_u64_u32 v[5:6], null, 0xcd9e8d57, v1, 0
	v_mad_u64_u32 v[0:1], null, 0xcd9e8d57, v4, 0
	s_delay_alu instid0(VALU_DEP_3) | instskip(SKIP_1) | instid1(VALU_DEP_4)
	v_div_scale_f32 v41, null, v34, v34, v40
	v_div_scale_f32 v43, vcc_lo, v40, v34, v40
	v_xor3_b32 v2, v19, v6, v2
	s_delay_alu instid0(VALU_DEP_3) | instskip(NEXT) | instid1(VALU_DEP_4)
	v_rcp_f32_e32 v42, v41
	v_xor3_b32 v4, v26, v1, v5
	s_cselect_b32 s11, -1, 0
	s_cmp_lg_u32 s4, 0
	v_mad_u64_u32 v[6:7], null, 0xd2511f53, v2, 0
	s_delay_alu instid0(VALU_DEP_2)
	v_mad_u64_u32 v[1:2], null, 0xd2511f53, v4, 0
	s_cselect_b32 s27, -1, 0
	s_add_u32 s0, s0, 0xf4
	s_waitcnt_depctr 0xfff
	v_fma_f32 v5, -v41, v42, 1.0
	s_addc_u32 s1, s1, 0
	v_xor3_b32 v7, v35, v7, v3
	s_min_u32 s21, s20, 15
	v_xor3_b32 v2, v36, v2, v6
	v_fmac_f32_e32 v42, v5, v42
	s_cmp_gt_u32 s4, 1
	v_mad_u64_u32 v[3:4], null, 0xcd9e8d57, v7, 0
	s_delay_alu instid0(VALU_DEP_3) | instskip(NEXT) | instid1(VALU_DEP_3)
	v_mad_u64_u32 v[12:13], null, 0xcd9e8d57, v2, 0
	v_mul_f32_e32 v5, v43, v42
	s_cselect_b32 s4, -1, 0
	s_add_i32 s21, s21, 1
	s_lshl_b32 s28, s24, 1
	s_delay_alu instid0(VALU_DEP_3) | instskip(SKIP_1) | instid1(VALU_DEP_4)
	v_xor3_b32 v0, v18, v4, v0
	v_fma_f32 v4, -v41, v5, v43
	v_xor3_b32 v2, v27, v13, v3
	s_and_b32 s29, s21, 3
	s_cmp_lg_u32 s20, 2
	v_mad_u64_u32 v[38:39], null, 0xd2511f53, v0, 0
	v_fmac_f32_e32 v5, v4, v42
	s_cselect_b32 s30, -1, 0
	s_and_b32 s31, s21, 28
	s_cmp_lg_u32 s29, 0
	s_delay_alu instid0(VALU_DEP_1) | instskip(NEXT) | instid1(VALU_DEP_3)
	v_fma_f32 v0, -v41, v5, v43
	v_xor3_b32 v3, v37, v39, v1
	v_mov_b32_e32 v39, v11
	s_cselect_b32 s34, -1, 0
	s_delay_alu instid0(VALU_DEP_3) | instskip(SKIP_2) | instid1(VALU_DEP_3)
	v_div_fmas_f32 v6, v0, v42, v5
	v_mad_u64_u32 v[0:1], null, 0xd2511f53, v2, 0
	v_mad_u64_u32 v[4:5], null, 0xcd9e8d57, v3, 0
	v_div_fixup_f32 v2, v6, v34, v40
	s_delay_alu instid0(VALU_DEP_3) | instskip(NEXT) | instid1(VALU_DEP_2)
	v_mov_b32_e32 v6, v0
	v_ceil_f32_e32 v2, v2
	s_delay_alu instid0(VALU_DEP_4) | instskip(SKIP_1) | instid1(VALU_DEP_3)
	v_xor3_b32 v3, v5, v12, v16
	v_xor3_b32 v5, v1, v38, v17
	v_cvt_i32_f32_e32 v38, v2
	s_branch .LBB17_9
.LBB17_7:                               ;   in Loop: Header=BB17_9 Depth=1
	global_store_b16 v4, v38, s[12:13]
.LBB17_8:                               ;   in Loop: Header=BB17_9 Depth=1
	s_or_b32 exec_lo, exec_lo, s35
	v_add_co_u32 v10, vcc_lo, v10, s25
	v_add_co_ci_u32_e32 v11, vcc_lo, 0, v11, vcc_lo
	v_mov_b32_e32 v3, v12
	s_waitcnt_vscnt null, 0x0
	s_barrier
	s_delay_alu instid0(VALU_DEP_2)
	v_cmp_le_i64_e32 vcc_lo, s[2:3], v[10:11]
	buffer_gl0_inv
	v_mov_b32_e32 v6, v3
	v_dual_mov_b32 v5, v2 :: v_dual_mov_b32 v4, v1
	v_mov_b32_e32 v3, v0
	s_or_b32 s26, vcc_lo, s26
	s_delay_alu instid0(SALU_CYCLE_1)
	s_and_not1_b32 exec_lo, exec_lo, s26
	s_cbranch_execz .LBB17_78
.LBB17_9:                               ; =>This Loop Header: Depth=1
                                        ;     Child Loop BB17_24 Depth 2
                                        ;     Child Loop BB17_29 Depth 2
	;; [unrolled: 1-line block ×8, first 2 shown]
	v_add_co_u32 v22, vcc_lo, v22, 1
	s_delay_alu instid0(VALU_DEP_1) | instskip(SKIP_2) | instid1(VALU_DEP_1)
	v_cndmask_b32_e64 v0, 0, 1, vcc_lo
	v_add_co_ci_u32_e32 v23, vcc_lo, 0, v23, vcc_lo
	s_mov_b32 s20, exec_lo
	v_cmp_eq_u32_e32 vcc_lo, 0, v23
	s_delay_alu instid0(VALU_DEP_3) | instskip(NEXT) | instid1(VALU_DEP_1)
	v_cndmask_b32_e32 v0, 0, v0, vcc_lo
	v_add_nc_u32_e32 v29, v0, v29
	s_delay_alu instid0(VALU_DEP_1) | instskip(SKIP_2) | instid1(VALU_DEP_2)
	v_cmp_eq_u32_e32 vcc_lo, 0, v29
	v_cndmask_b32_e32 v0, 0, v0, vcc_lo
	v_mad_u64_u32 v[12:13], null, 0xcd9e8d57, v29, 0
	v_add_nc_u32_e32 v39, v0, v39
	v_mad_u64_u32 v[0:1], null, 0xd2511f53, v22, 0
	s_delay_alu instid0(VALU_DEP_3) | instskip(NEXT) | instid1(VALU_DEP_2)
	v_xor3_b32 v7, v13, v8, v23
	v_xor_b32_e32 v1, v1, v9
	s_delay_alu instid0(VALU_DEP_1) | instskip(NEXT) | instid1(VALU_DEP_3)
	v_xor_b32_e32 v40, v39, v1
	v_mad_u64_u32 v[1:2], null, 0xd2511f53, v7, 0
	s_delay_alu instid0(VALU_DEP_2) | instskip(NEXT) | instid1(VALU_DEP_2)
	v_mad_u64_u32 v[13:14], null, 0xcd9e8d57, v40, 0
	v_xor3_b32 v0, v28, v2, v0
	s_delay_alu instid0(VALU_DEP_2) | instskip(NEXT) | instid1(VALU_DEP_2)
	v_xor3_b32 v2, v21, v14, v12
	v_mad_u64_u32 v[40:41], null, 0xcd9e8d57, v0, 0
	s_delay_alu instid0(VALU_DEP_2) | instskip(NEXT) | instid1(VALU_DEP_2)
	v_mad_u64_u32 v[42:43], null, 0xd2511f53, v2, 0
	v_xor3_b32 v2, v24, v41, v13
	s_delay_alu instid0(VALU_DEP_2) | instskip(NEXT) | instid1(VALU_DEP_2)
	v_xor3_b32 v7, v30, v43, v1
	v_mad_u64_u32 v[0:1], null, 0xd2511f53, v2, 0
	s_delay_alu instid0(VALU_DEP_2) | instskip(NEXT) | instid1(VALU_DEP_2)
	v_mad_u64_u32 v[12:13], null, 0xcd9e8d57, v7, 0
	v_xor3_b32 v7, v31, v1, v42
	s_delay_alu instid0(VALU_DEP_2) | instskip(NEXT) | instid1(VALU_DEP_2)
	v_xor3_b32 v40, v20, v13, v40
	v_mad_u64_u32 v[1:2], null, 0xcd9e8d57, v7, 0
	s_delay_alu instid0(VALU_DEP_2) | instskip(NEXT) | instid1(VALU_DEP_2)
	v_mad_u64_u32 v[13:14], null, 0xd2511f53, v40, 0
	v_xor3_b32 v2, v25, v2, v12
	s_delay_alu instid0(VALU_DEP_2) | instskip(NEXT) | instid1(VALU_DEP_2)
	v_xor3_b32 v0, v32, v14, v0
	v_mad_u64_u32 v[40:41], null, 0xd2511f53, v2, 0
	s_delay_alu instid0(VALU_DEP_2) | instskip(NEXT) | instid1(VALU_DEP_2)
	v_mad_u64_u32 v[42:43], null, 0xcd9e8d57, v0, 0
	v_xor3_b32 v2, v33, v41, v13
	s_delay_alu instid0(VALU_DEP_2) | instskip(NEXT) | instid1(VALU_DEP_2)
	v_xor3_b32 v7, v19, v43, v1
	v_mad_u64_u32 v[0:1], null, 0xcd9e8d57, v2, 0
	s_delay_alu instid0(VALU_DEP_2) | instskip(NEXT) | instid1(VALU_DEP_2)
	v_mad_u64_u32 v[12:13], null, 0xd2511f53, v7, 0
	v_xor3_b32 v7, v26, v1, v42
	s_delay_alu instid0(VALU_DEP_2) | instskip(NEXT) | instid1(VALU_DEP_2)
	v_xor3_b32 v40, v35, v13, v40
	v_mad_u64_u32 v[1:2], null, 0xd2511f53, v7, 0
	s_delay_alu instid0(VALU_DEP_2) | instskip(NEXT) | instid1(VALU_DEP_2)
	v_mad_u64_u32 v[13:14], null, 0xcd9e8d57, v40, 0
	v_xor3_b32 v2, v36, v2, v12
	s_delay_alu instid0(VALU_DEP_2) | instskip(NEXT) | instid1(VALU_DEP_2)
	v_xor3_b32 v0, v18, v14, v0
	v_mad_u64_u32 v[40:41], null, 0xcd9e8d57, v2, 0
	s_delay_alu instid0(VALU_DEP_2) | instskip(NEXT) | instid1(VALU_DEP_2)
	v_mad_u64_u32 v[42:43], null, 0xd2511f53, v0, 0
	v_xor3_b32 v0, v27, v41, v13
	s_delay_alu instid0(VALU_DEP_2) | instskip(NEXT) | instid1(VALU_DEP_2)
	v_xor3_b32 v7, v37, v43, v1
	v_mad_u64_u32 v[12:13], null, 0xd2511f53, v0, 0
	s_delay_alu instid0(VALU_DEP_2) | instskip(NEXT) | instid1(VALU_DEP_2)
	v_mad_u64_u32 v[1:2], null, 0xcd9e8d57, v7, 0
	v_xor3_b32 v7, v13, v42, v17
	s_delay_alu instid0(VALU_DEP_2) | instskip(NEXT) | instid1(VALU_DEP_2)
	v_xor3_b32 v0, v2, v40, v16
	v_mov_b32_e32 v2, v7
	v_cmpx_lt_i32_e32 1, v15
	s_xor_b32 s20, exec_lo, s20
	s_cbranch_execnz .LBB17_12
; %bb.10:                               ;   in Loop: Header=BB17_9 Depth=1
	s_and_not1_saveexec_b32 s20, s20
	s_cbranch_execnz .LBB17_17
.LBB17_11:                              ;   in Loop: Header=BB17_9 Depth=1
	s_or_b32 exec_lo, exec_lo, s20
	s_delay_alu instid0(SALU_CYCLE_1)
	s_mov_b32 s35, exec_lo
	v_cmpx_gt_i64_e64 s[16:17], v[10:11]
	s_cbranch_execnz .LBB17_20
	s_branch .LBB17_34
.LBB17_12:                              ;   in Loop: Header=BB17_9 Depth=1
	s_mov_b32 s21, exec_lo
	v_cmpx_lt_i32_e32 2, v15
	s_xor_b32 s21, exec_lo, s21
; %bb.13:                               ;   in Loop: Header=BB17_9 Depth=1
	v_dual_mov_b32 v4, v6 :: v_dual_mov_b32 v5, v0
	v_mov_b32_e32 v6, v1
	s_delay_alu instid0(VALU_DEP_2) | instskip(NEXT) | instid1(VALU_DEP_3)
	v_mov_b32_e32 v3, v4
	v_mov_b32_e32 v4, v5
	s_delay_alu instid0(VALU_DEP_3)
	v_mov_b32_e32 v5, v6
	v_mov_b32_e32 v6, v7
; %bb.14:                               ;   in Loop: Header=BB17_9 Depth=1
	s_and_not1_saveexec_b32 s21, s21
; %bb.15:                               ;   in Loop: Header=BB17_9 Depth=1
	s_delay_alu instid0(VALU_DEP_1)
	v_dual_mov_b32 v3, v5 :: v_dual_mov_b32 v4, v6
	v_dual_mov_b32 v5, v0 :: v_dual_mov_b32 v6, v1
; %bb.16:                               ;   in Loop: Header=BB17_9 Depth=1
	s_or_b32 exec_lo, exec_lo, s21
	s_and_not1_saveexec_b32 s20, s20
	s_cbranch_execz .LBB17_11
.LBB17_17:                              ;   in Loop: Header=BB17_9 Depth=1
	s_mov_b32 s21, exec_lo
	v_cmpx_eq_u32_e32 1, v15
; %bb.18:                               ;   in Loop: Header=BB17_9 Depth=1
	v_dual_mov_b32 v3, v4 :: v_dual_mov_b32 v4, v5
	v_dual_mov_b32 v5, v6 :: v_dual_mov_b32 v6, v0
; %bb.19:                               ;   in Loop: Header=BB17_9 Depth=1
	s_or_b32 exec_lo, exec_lo, s21
	s_delay_alu instid0(SALU_CYCLE_1) | instskip(NEXT) | instid1(SALU_CYCLE_1)
	s_or_b32 exec_lo, exec_lo, s20
	s_mov_b32 s35, exec_lo
	v_cmpx_gt_i64_e64 s[16:17], v[10:11]
	s_cbranch_execz .LBB17_34
.LBB17_20:                              ;   in Loop: Header=BB17_9 Depth=1
	s_and_not1_b32 vcc_lo, exec_lo, s11
	s_cbranch_vccnz .LBB17_26
; %bb.21:                               ;   in Loop: Header=BB17_9 Depth=1
	v_mov_b32_e32 v7, 0
	s_and_not1_b32 vcc_lo, exec_lo, s27
	s_cbranch_vccnz .LBB17_30
; %bb.22:                               ;   in Loop: Header=BB17_9 Depth=1
	s_and_not1_b32 vcc_lo, exec_lo, s30
	s_mov_b32 s20, 0
	s_cbranch_vccnz .LBB17_27
; %bb.23:                               ;   in Loop: Header=BB17_9 Depth=1
	v_mov_b32_e32 v7, 0
	v_mov_b32_e32 v13, v10
	s_mov_b32 s36, 0
	s_mov_b64 s[20:21], s[18:19]
	s_mov_b64 s[22:23], s[0:1]
.LBB17_24:                              ;   Parent Loop BB17_9 Depth=1
                                        ; =>  This Inner Loop Header: Depth=2
	s_clause 0x1
	s_load_b256 s[40:47], s[20:21], 0x4
	s_load_b128 s[48:51], s[20:21], 0x24
	s_load_b128 s[52:55], s[22:23], 0x0
	s_add_u32 s20, s20, 48
	s_addc_u32 s21, s21, 0
	s_add_i32 s36, s36, 4
	s_add_u32 s22, s22, 16
	s_addc_u32 s23, s23, 0
	s_cmp_lg_u32 s31, s36
	s_waitcnt lgkmcnt(0)
	v_mul_hi_u32 v14, s41, v13
	s_delay_alu instid0(VALU_DEP_1) | instskip(NEXT) | instid1(VALU_DEP_1)
	v_add_nc_u32_e32 v14, v13, v14
	v_lshrrev_b32_e32 v14, s42, v14
	s_delay_alu instid0(VALU_DEP_1) | instskip(SKIP_1) | instid1(VALU_DEP_2)
	v_mul_hi_u32 v40, s44, v14
	v_mul_lo_u32 v43, v14, s40
	v_add_nc_u32_e32 v40, v14, v40
	s_delay_alu instid0(VALU_DEP_2) | instskip(NEXT) | instid1(VALU_DEP_2)
	v_sub_nc_u32_e32 v43, v13, v43
	v_lshrrev_b32_e32 v40, s45, v40
	s_delay_alu instid0(VALU_DEP_2) | instskip(NEXT) | instid1(VALU_DEP_2)
	v_mul_lo_u32 v43, v43, s52
	v_mul_hi_u32 v41, s47, v40
	v_mul_lo_u32 v44, v40, s43
	s_delay_alu instid0(VALU_DEP_2) | instskip(NEXT) | instid1(VALU_DEP_2)
	v_add_nc_u32_e32 v41, v40, v41
	v_sub_nc_u32_e32 v14, v14, v44
	s_delay_alu instid0(VALU_DEP_2) | instskip(NEXT) | instid1(VALU_DEP_2)
	v_lshrrev_b32_e32 v41, s48, v41
	v_mul_lo_u32 v14, v14, s53
	s_delay_alu instid0(VALU_DEP_2) | instskip(NEXT) | instid1(VALU_DEP_2)
	v_mul_hi_u32 v42, s50, v41
	v_add3_u32 v7, v43, v7, v14
	s_delay_alu instid0(VALU_DEP_2) | instskip(NEXT) | instid1(VALU_DEP_1)
	v_add_nc_u32_e32 v42, v41, v42
	v_lshrrev_b32_e32 v13, s51, v42
	v_mul_lo_u32 v42, v41, s46
	s_delay_alu instid0(VALU_DEP_2) | instskip(NEXT) | instid1(VALU_DEP_2)
	v_mul_lo_u32 v45, v13, s49
	v_sub_nc_u32_e32 v40, v40, v42
	s_delay_alu instid0(VALU_DEP_2) | instskip(NEXT) | instid1(VALU_DEP_2)
	v_sub_nc_u32_e32 v41, v41, v45
	v_mul_lo_u32 v40, v40, s54
	s_delay_alu instid0(VALU_DEP_2) | instskip(NEXT) | instid1(VALU_DEP_1)
	v_mul_lo_u32 v41, v41, s55
	v_add3_u32 v7, v40, v7, v41
	s_cbranch_scc1 .LBB17_24
; %bb.25:                               ;   in Loop: Header=BB17_9 Depth=1
	s_mov_b32 s20, s31
	s_and_not1_b32 vcc_lo, exec_lo, s34
	s_cbranch_vccz .LBB17_28
	s_branch .LBB17_30
.LBB17_26:                              ;   in Loop: Header=BB17_9 Depth=1
                                        ; implicit-def: $vgpr7
	s_branch .LBB17_31
.LBB17_27:                              ;   in Loop: Header=BB17_9 Depth=1
	v_mov_b32_e32 v13, v10
	s_and_not1_b32 vcc_lo, exec_lo, s34
	s_cbranch_vccnz .LBB17_30
.LBB17_28:                              ;   in Loop: Header=BB17_9 Depth=1
	s_lshl_b32 s21, s20, 2
	s_mul_i32 s22, s20, 12
	s_add_u32 s20, s0, s21
	s_addc_u32 s21, s1, 0
	s_add_u32 s22, s18, s22
	s_addc_u32 s23, s19, 0
	s_mov_b32 s36, s29
	.p2align	6
.LBB17_29:                              ;   Parent Loop BB17_9 Depth=1
                                        ; =>  This Inner Loop Header: Depth=2
	s_clause 0x1
	s_load_b64 s[38:39], s[22:23], 0x4
	s_load_b32 s37, s[22:23], 0xc
	s_add_u32 s22, s22, 12
	s_addc_u32 s23, s23, 0
	s_waitcnt lgkmcnt(0)
	v_mul_hi_u32 v14, s39, v13
	s_load_b32 s39, s[20:21], 0x0
	s_add_u32 s20, s20, 4
	s_addc_u32 s21, s21, 0
	s_add_i32 s36, s36, -1
	s_delay_alu instid0(SALU_CYCLE_1) | instskip(NEXT) | instid1(VALU_DEP_1)
	s_cmp_lg_u32 s36, 0
	v_add_nc_u32_e32 v14, v13, v14
	s_delay_alu instid0(VALU_DEP_1) | instskip(NEXT) | instid1(VALU_DEP_1)
	v_lshrrev_b32_e32 v14, s37, v14
	v_mul_lo_u32 v40, v14, s38
	s_delay_alu instid0(VALU_DEP_1) | instskip(SKIP_1) | instid1(VALU_DEP_1)
	v_sub_nc_u32_e32 v13, v13, v40
	s_waitcnt lgkmcnt(0)
	v_mad_u64_u32 v[40:41], null, v13, s39, v[7:8]
	v_mov_b32_e32 v13, v14
	s_delay_alu instid0(VALU_DEP_2)
	v_mov_b32_e32 v7, v40
	s_cbranch_scc1 .LBB17_29
.LBB17_30:                              ;   in Loop: Header=BB17_9 Depth=1
	s_cbranch_execnz .LBB17_33
.LBB17_31:                              ;   in Loop: Header=BB17_9 Depth=1
	v_mul_hi_u32 v7, v10, s6
	s_and_not1_b32 vcc_lo, exec_lo, s4
	s_delay_alu instid0(VALU_DEP_1) | instskip(NEXT) | instid1(VALU_DEP_1)
	v_add_nc_u32_e32 v7, v7, v10
	v_lshrrev_b32_e32 v13, s7, v7
	s_delay_alu instid0(VALU_DEP_1) | instskip(NEXT) | instid1(VALU_DEP_1)
	v_mul_lo_u32 v7, v13, s5
	v_sub_nc_u32_e32 v7, v10, v7
	s_delay_alu instid0(VALU_DEP_1)
	v_mul_lo_u32 v7, v7, s14
	s_cbranch_vccnz .LBB17_33
; %bb.32:                               ;   in Loop: Header=BB17_9 Depth=1
	v_mul_hi_u32 v14, s9, v13
	s_delay_alu instid0(VALU_DEP_1) | instskip(NEXT) | instid1(VALU_DEP_1)
	v_add_nc_u32_e32 v14, v13, v14
	v_lshrrev_b32_e32 v14, s10, v14
	s_delay_alu instid0(VALU_DEP_1) | instskip(NEXT) | instid1(VALU_DEP_1)
	v_mul_lo_u32 v14, v14, s8
	v_sub_nc_u32_e32 v40, v13, v14
	s_delay_alu instid0(VALU_DEP_1) | instskip(NEXT) | instid1(VALU_DEP_1)
	v_mad_u64_u32 v[13:14], null, v40, s15, v[7:8]
	v_mov_b32_e32 v7, v13
.LBB17_33:                              ;   in Loop: Header=BB17_9 Depth=1
	v_lshrrev_b32_e32 v4, 11, v4
	s_delay_alu instid0(VALU_DEP_1) | instskip(SKIP_1) | instid1(VALU_DEP_2)
	v_cvt_f64_u32_e32 v[13:14], v4
	v_cvt_f64_u32_e32 v[3:4], v3
	v_ldexp_f64 v[13:14], v[13:14], 32
	s_delay_alu instid0(VALU_DEP_1) | instskip(NEXT) | instid1(VALU_DEP_1)
	v_add_f64 v[3:4], v[13:14], v[3:4]
	v_fma_f64 v[3:4], 0x3ca00000, v[3:4], 0x3ca00000
	s_delay_alu instid0(VALU_DEP_1) | instskip(NEXT) | instid1(VALU_DEP_1)
	v_cvt_f32_f64_e32 v3, v[3:4]
	v_cmp_gt_f32_e32 vcc_lo, 0x800000, v3
	v_cndmask_b32_e64 v4, 1.0, 0x4f800000, vcc_lo
	s_delay_alu instid0(VALU_DEP_1) | instskip(NEXT) | instid1(VALU_DEP_1)
	v_mul_f32_e32 v3, v3, v4
	v_log_f32_e32 v3, v3
	s_waitcnt_depctr 0xfff
	v_mul_f32_e32 v4, 0x3f317217, v3
	s_delay_alu instid0(VALU_DEP_1) | instskip(NEXT) | instid1(VALU_DEP_1)
	v_fma_f32 v13, 0x3f317217, v3, -v4
	v_fmac_f32_e32 v13, 0x3377d1cf, v3
	s_delay_alu instid0(VALU_DEP_1) | instskip(SKIP_2) | instid1(VALU_DEP_3)
	v_add_f32_e32 v4, v4, v13
	v_cndmask_b32_e64 v13, 0, 0x41b17218, vcc_lo
	v_cmp_gt_f32_e64 vcc_lo, 0x7f800000, |v3|
	v_cndmask_b32_e32 v3, v3, v4, vcc_lo
	s_delay_alu instid0(VALU_DEP_1) | instskip(NEXT) | instid1(VALU_DEP_1)
	v_sub_f32_e32 v3, v3, v13
	v_div_scale_f32 v4, null, v34, v34, v3
	s_delay_alu instid0(VALU_DEP_1) | instskip(SKIP_2) | instid1(VALU_DEP_1)
	v_rcp_f32_e32 v13, v4
	s_waitcnt_depctr 0xfff
	v_fma_f32 v14, -v4, v13, 1.0
	v_fmac_f32_e32 v13, v14, v13
	v_div_scale_f32 v14, vcc_lo, v3, v34, v3
	s_delay_alu instid0(VALU_DEP_1) | instskip(NEXT) | instid1(VALU_DEP_1)
	v_mul_f32_e32 v40, v14, v13
	v_fma_f32 v41, -v4, v40, v14
	s_delay_alu instid0(VALU_DEP_1) | instskip(NEXT) | instid1(VALU_DEP_1)
	v_fmac_f32_e32 v40, v41, v13
	v_fma_f32 v4, -v4, v40, v14
	s_delay_alu instid0(VALU_DEP_1) | instskip(NEXT) | instid1(VALU_DEP_1)
	v_div_fmas_f32 v4, v4, v13, v40
	v_div_fixup_f32 v3, v4, v34, v3
	s_delay_alu instid0(VALU_DEP_1) | instskip(NEXT) | instid1(VALU_DEP_1)
	v_ceil_f32_e32 v3, v3
	v_cvt_i32_f32_e32 v3, v3
	global_store_b16 v7, v3, s[12:13]
.LBB17_34:                              ;   in Loop: Header=BB17_9 Depth=1
	s_or_b32 exec_lo, exec_lo, s35
	v_add_co_u32 v13, vcc_lo, v10, s24
	v_add_co_ci_u32_e32 v14, vcc_lo, 0, v11, vcc_lo
	s_mov_b32 s35, exec_lo
	s_delay_alu instid0(VALU_DEP_1)
	v_cmpx_gt_i64_e64 s[16:17], v[13:14]
	s_cbranch_execz .LBB17_49
; %bb.35:                               ;   in Loop: Header=BB17_9 Depth=1
	s_and_not1_b32 vcc_lo, exec_lo, s11
	s_cbranch_vccnz .LBB17_41
; %bb.36:                               ;   in Loop: Header=BB17_9 Depth=1
	v_mov_b32_e32 v3, 0
	s_and_not1_b32 vcc_lo, exec_lo, s27
	s_cbranch_vccnz .LBB17_45
; %bb.37:                               ;   in Loop: Header=BB17_9 Depth=1
	s_and_not1_b32 vcc_lo, exec_lo, s30
	s_mov_b32 s20, 0
	s_cbranch_vccnz .LBB17_42
; %bb.38:                               ;   in Loop: Header=BB17_9 Depth=1
	v_dual_mov_b32 v3, 0 :: v_dual_mov_b32 v4, v13
	s_mov_b32 s36, 0
	s_mov_b64 s[20:21], s[18:19]
	s_mov_b64 s[22:23], s[0:1]
.LBB17_39:                              ;   Parent Loop BB17_9 Depth=1
                                        ; =>  This Inner Loop Header: Depth=2
	s_clause 0x1
	s_load_b256 s[40:47], s[20:21], 0x4
	s_load_b128 s[48:51], s[20:21], 0x24
	s_load_b128 s[52:55], s[22:23], 0x0
	s_add_u32 s20, s20, 48
	s_addc_u32 s21, s21, 0
	s_add_i32 s36, s36, 4
	s_add_u32 s22, s22, 16
	s_addc_u32 s23, s23, 0
	s_cmp_eq_u32 s31, s36
	s_waitcnt lgkmcnt(0)
	v_mul_hi_u32 v7, s41, v4
	s_delay_alu instid0(VALU_DEP_1) | instskip(NEXT) | instid1(VALU_DEP_1)
	v_add_nc_u32_e32 v7, v4, v7
	v_lshrrev_b32_e32 v7, s42, v7
	s_delay_alu instid0(VALU_DEP_1) | instskip(SKIP_1) | instid1(VALU_DEP_2)
	v_mul_hi_u32 v14, s44, v7
	v_mul_lo_u32 v42, v7, s40
	v_add_nc_u32_e32 v14, v7, v14
	s_delay_alu instid0(VALU_DEP_2) | instskip(NEXT) | instid1(VALU_DEP_2)
	v_sub_nc_u32_e32 v42, v4, v42
	v_lshrrev_b32_e32 v14, s45, v14
	s_delay_alu instid0(VALU_DEP_2) | instskip(NEXT) | instid1(VALU_DEP_2)
	v_mul_lo_u32 v42, v42, s52
	v_mul_hi_u32 v40, s47, v14
	v_mul_lo_u32 v43, v14, s43
	s_delay_alu instid0(VALU_DEP_2) | instskip(NEXT) | instid1(VALU_DEP_2)
	v_add_nc_u32_e32 v40, v14, v40
	v_sub_nc_u32_e32 v7, v7, v43
	s_delay_alu instid0(VALU_DEP_2) | instskip(NEXT) | instid1(VALU_DEP_2)
	v_lshrrev_b32_e32 v40, s48, v40
	v_mul_lo_u32 v7, v7, s53
	s_delay_alu instid0(VALU_DEP_2) | instskip(NEXT) | instid1(VALU_DEP_2)
	v_mul_hi_u32 v41, s50, v40
	v_add3_u32 v3, v42, v3, v7
	s_delay_alu instid0(VALU_DEP_2) | instskip(NEXT) | instid1(VALU_DEP_1)
	v_add_nc_u32_e32 v41, v40, v41
	v_lshrrev_b32_e32 v4, s51, v41
	v_mul_lo_u32 v41, v40, s46
	s_delay_alu instid0(VALU_DEP_2) | instskip(NEXT) | instid1(VALU_DEP_2)
	v_mul_lo_u32 v44, v4, s49
	v_sub_nc_u32_e32 v14, v14, v41
	s_delay_alu instid0(VALU_DEP_2) | instskip(NEXT) | instid1(VALU_DEP_2)
	v_sub_nc_u32_e32 v40, v40, v44
	v_mul_lo_u32 v14, v14, s54
	s_delay_alu instid0(VALU_DEP_2) | instskip(NEXT) | instid1(VALU_DEP_1)
	v_mul_lo_u32 v40, v40, s55
	v_add3_u32 v3, v14, v3, v40
	s_cbranch_scc0 .LBB17_39
; %bb.40:                               ;   in Loop: Header=BB17_9 Depth=1
	s_mov_b32 s20, s31
	s_and_not1_b32 vcc_lo, exec_lo, s34
	s_cbranch_vccz .LBB17_43
	s_branch .LBB17_45
.LBB17_41:                              ;   in Loop: Header=BB17_9 Depth=1
                                        ; implicit-def: $vgpr3
	s_branch .LBB17_46
.LBB17_42:                              ;   in Loop: Header=BB17_9 Depth=1
	v_mov_b32_e32 v4, v13
	s_and_not1_b32 vcc_lo, exec_lo, s34
	s_cbranch_vccnz .LBB17_45
.LBB17_43:                              ;   in Loop: Header=BB17_9 Depth=1
	s_lshl_b32 s21, s20, 2
	s_mul_i32 s22, s20, 12
	s_add_u32 s20, s0, s21
	s_addc_u32 s21, s1, 0
	s_add_u32 s22, s18, s22
	s_addc_u32 s23, s19, 0
	s_mov_b32 s36, s29
	.p2align	6
.LBB17_44:                              ;   Parent Loop BB17_9 Depth=1
                                        ; =>  This Inner Loop Header: Depth=2
	s_clause 0x1
	s_load_b64 s[38:39], s[22:23], 0x4
	s_load_b32 s37, s[22:23], 0xc
	s_add_u32 s22, s22, 12
	s_addc_u32 s23, s23, 0
	s_waitcnt lgkmcnt(0)
	v_mul_hi_u32 v7, s39, v4
	s_load_b32 s39, s[20:21], 0x0
	s_add_u32 s20, s20, 4
	s_addc_u32 s21, s21, 0
	s_add_i32 s36, s36, -1
	s_delay_alu instid0(SALU_CYCLE_1) | instskip(NEXT) | instid1(VALU_DEP_1)
	s_cmp_lg_u32 s36, 0
	v_add_nc_u32_e32 v7, v4, v7
	s_delay_alu instid0(VALU_DEP_1) | instskip(NEXT) | instid1(VALU_DEP_1)
	v_lshrrev_b32_e32 v7, s37, v7
	v_mul_lo_u32 v14, v7, s38
	s_delay_alu instid0(VALU_DEP_1) | instskip(SKIP_1) | instid1(VALU_DEP_1)
	v_sub_nc_u32_e32 v4, v4, v14
	s_waitcnt lgkmcnt(0)
	v_mad_u64_u32 v[40:41], null, v4, s39, v[3:4]
	s_delay_alu instid0(VALU_DEP_1)
	v_dual_mov_b32 v4, v7 :: v_dual_mov_b32 v3, v40
	s_cbranch_scc1 .LBB17_44
.LBB17_45:                              ;   in Loop: Header=BB17_9 Depth=1
	s_cbranch_execnz .LBB17_48
.LBB17_46:                              ;   in Loop: Header=BB17_9 Depth=1
	v_mul_hi_u32 v3, v13, s6
	s_and_not1_b32 vcc_lo, exec_lo, s4
	s_delay_alu instid0(VALU_DEP_1) | instskip(NEXT) | instid1(VALU_DEP_1)
	v_add_nc_u32_e32 v3, v3, v13
	v_lshrrev_b32_e32 v4, s7, v3
	s_delay_alu instid0(VALU_DEP_1) | instskip(NEXT) | instid1(VALU_DEP_1)
	v_mul_lo_u32 v3, v4, s5
	v_sub_nc_u32_e32 v3, v13, v3
	s_delay_alu instid0(VALU_DEP_1)
	v_mul_lo_u32 v3, v3, s14
	s_cbranch_vccnz .LBB17_48
; %bb.47:                               ;   in Loop: Header=BB17_9 Depth=1
	v_mul_hi_u32 v7, s9, v4
	s_delay_alu instid0(VALU_DEP_1) | instskip(NEXT) | instid1(VALU_DEP_1)
	v_add_nc_u32_e32 v7, v4, v7
	v_lshrrev_b32_e32 v7, s10, v7
	s_delay_alu instid0(VALU_DEP_1) | instskip(NEXT) | instid1(VALU_DEP_1)
	v_mul_lo_u32 v7, v7, s8
	v_sub_nc_u32_e32 v4, v4, v7
	s_delay_alu instid0(VALU_DEP_1) | instskip(NEXT) | instid1(VALU_DEP_1)
	v_mad_u64_u32 v[13:14], null, v4, s15, v[3:4]
	v_mov_b32_e32 v3, v13
.LBB17_48:                              ;   in Loop: Header=BB17_9 Depth=1
	v_lshrrev_b32_e32 v4, 11, v6
	s_delay_alu instid0(VALU_DEP_1) | instskip(SKIP_1) | instid1(VALU_DEP_2)
	v_cvt_f64_u32_e32 v[6:7], v4
	v_cvt_f64_u32_e32 v[4:5], v5
	v_ldexp_f64 v[6:7], v[6:7], 32
	s_delay_alu instid0(VALU_DEP_1) | instskip(NEXT) | instid1(VALU_DEP_1)
	v_add_f64 v[4:5], v[6:7], v[4:5]
	v_fma_f64 v[4:5], 0x3ca00000, v[4:5], 0x3ca00000
	s_delay_alu instid0(VALU_DEP_1) | instskip(NEXT) | instid1(VALU_DEP_1)
	v_cvt_f32_f64_e32 v4, v[4:5]
	v_cmp_gt_f32_e32 vcc_lo, 0x800000, v4
	v_cndmask_b32_e64 v5, 1.0, 0x4f800000, vcc_lo
	s_delay_alu instid0(VALU_DEP_1) | instskip(NEXT) | instid1(VALU_DEP_1)
	v_mul_f32_e32 v4, v4, v5
	v_log_f32_e32 v4, v4
	s_waitcnt_depctr 0xfff
	v_mul_f32_e32 v5, 0x3f317217, v4
	s_delay_alu instid0(VALU_DEP_1) | instskip(NEXT) | instid1(VALU_DEP_1)
	v_fma_f32 v6, 0x3f317217, v4, -v5
	v_fmac_f32_e32 v6, 0x3377d1cf, v4
	s_delay_alu instid0(VALU_DEP_1) | instskip(SKIP_2) | instid1(VALU_DEP_3)
	v_add_f32_e32 v5, v5, v6
	v_cndmask_b32_e64 v6, 0, 0x41b17218, vcc_lo
	v_cmp_gt_f32_e64 vcc_lo, 0x7f800000, |v4|
	v_cndmask_b32_e32 v4, v4, v5, vcc_lo
	s_delay_alu instid0(VALU_DEP_1) | instskip(NEXT) | instid1(VALU_DEP_1)
	v_sub_f32_e32 v4, v4, v6
	v_div_scale_f32 v5, null, v34, v34, v4
	s_delay_alu instid0(VALU_DEP_1) | instskip(SKIP_2) | instid1(VALU_DEP_1)
	v_rcp_f32_e32 v6, v5
	s_waitcnt_depctr 0xfff
	v_fma_f32 v7, -v5, v6, 1.0
	v_fmac_f32_e32 v6, v7, v6
	v_div_scale_f32 v7, vcc_lo, v4, v34, v4
	s_delay_alu instid0(VALU_DEP_1) | instskip(NEXT) | instid1(VALU_DEP_1)
	v_mul_f32_e32 v13, v7, v6
	v_fma_f32 v14, -v5, v13, v7
	s_delay_alu instid0(VALU_DEP_1) | instskip(NEXT) | instid1(VALU_DEP_1)
	v_fmac_f32_e32 v13, v14, v6
	v_fma_f32 v5, -v5, v13, v7
	s_delay_alu instid0(VALU_DEP_1) | instskip(NEXT) | instid1(VALU_DEP_1)
	v_div_fmas_f32 v5, v5, v6, v13
	v_div_fixup_f32 v4, v5, v34, v4
	s_delay_alu instid0(VALU_DEP_1) | instskip(NEXT) | instid1(VALU_DEP_1)
	v_ceil_f32_e32 v4, v4
	v_cvt_i32_f32_e32 v4, v4
	global_store_b16 v3, v4, s[12:13]
.LBB17_49:                              ;   in Loop: Header=BB17_9 Depth=1
	s_or_b32 exec_lo, exec_lo, s35
	v_add_co_u32 v3, vcc_lo, v10, s28
	v_add_co_ci_u32_e32 v4, vcc_lo, 0, v11, vcc_lo
	s_mov_b32 s35, exec_lo
	s_delay_alu instid0(VALU_DEP_1)
	v_cmpx_gt_i64_e64 s[16:17], v[3:4]
	s_cbranch_execz .LBB17_64
; %bb.50:                               ;   in Loop: Header=BB17_9 Depth=1
	s_and_not1_b32 vcc_lo, exec_lo, s11
	s_cbranch_vccnz .LBB17_56
; %bb.51:                               ;   in Loop: Header=BB17_9 Depth=1
	v_mov_b32_e32 v4, 0
	s_and_not1_b32 vcc_lo, exec_lo, s27
	s_cbranch_vccnz .LBB17_60
; %bb.52:                               ;   in Loop: Header=BB17_9 Depth=1
	s_and_not1_b32 vcc_lo, exec_lo, s30
	s_mov_b32 s20, 0
	s_cbranch_vccnz .LBB17_57
; %bb.53:                               ;   in Loop: Header=BB17_9 Depth=1
	v_dual_mov_b32 v4, 0 :: v_dual_mov_b32 v5, v3
	s_mov_b32 s36, 0
	s_mov_b64 s[20:21], s[18:19]
	s_mov_b64 s[22:23], s[0:1]
.LBB17_54:                              ;   Parent Loop BB17_9 Depth=1
                                        ; =>  This Inner Loop Header: Depth=2
	s_clause 0x1
	s_load_b256 s[40:47], s[20:21], 0x4
	s_load_b128 s[48:51], s[20:21], 0x24
	s_load_b128 s[52:55], s[22:23], 0x0
	s_add_u32 s20, s20, 48
	s_addc_u32 s21, s21, 0
	s_add_i32 s36, s36, 4
	s_add_u32 s22, s22, 16
	s_addc_u32 s23, s23, 0
	s_cmp_eq_u32 s31, s36
	s_waitcnt lgkmcnt(0)
	v_mul_hi_u32 v6, s41, v5
	s_delay_alu instid0(VALU_DEP_1) | instskip(NEXT) | instid1(VALU_DEP_1)
	v_add_nc_u32_e32 v6, v5, v6
	v_lshrrev_b32_e32 v6, s42, v6
	s_delay_alu instid0(VALU_DEP_1) | instskip(SKIP_1) | instid1(VALU_DEP_2)
	v_mul_hi_u32 v7, s44, v6
	v_mul_lo_u32 v40, v6, s40
	v_add_nc_u32_e32 v7, v6, v7
	s_delay_alu instid0(VALU_DEP_2) | instskip(NEXT) | instid1(VALU_DEP_2)
	v_sub_nc_u32_e32 v40, v5, v40
	v_lshrrev_b32_e32 v7, s45, v7
	s_delay_alu instid0(VALU_DEP_2) | instskip(NEXT) | instid1(VALU_DEP_2)
	v_mul_lo_u32 v40, v40, s52
	v_mul_hi_u32 v13, s47, v7
	v_mul_lo_u32 v41, v7, s43
	s_delay_alu instid0(VALU_DEP_2) | instskip(NEXT) | instid1(VALU_DEP_2)
	v_add_nc_u32_e32 v13, v7, v13
	v_sub_nc_u32_e32 v6, v6, v41
	s_delay_alu instid0(VALU_DEP_2) | instskip(NEXT) | instid1(VALU_DEP_2)
	v_lshrrev_b32_e32 v13, s48, v13
	v_mul_lo_u32 v6, v6, s53
	s_delay_alu instid0(VALU_DEP_2) | instskip(NEXT) | instid1(VALU_DEP_2)
	v_mul_hi_u32 v14, s50, v13
	v_add3_u32 v4, v40, v4, v6
	s_delay_alu instid0(VALU_DEP_2) | instskip(NEXT) | instid1(VALU_DEP_1)
	v_add_nc_u32_e32 v14, v13, v14
	v_lshrrev_b32_e32 v5, s51, v14
	v_mul_lo_u32 v14, v13, s46
	s_delay_alu instid0(VALU_DEP_2) | instskip(NEXT) | instid1(VALU_DEP_2)
	v_mul_lo_u32 v42, v5, s49
	v_sub_nc_u32_e32 v7, v7, v14
	s_delay_alu instid0(VALU_DEP_2) | instskip(NEXT) | instid1(VALU_DEP_2)
	v_sub_nc_u32_e32 v13, v13, v42
	v_mul_lo_u32 v7, v7, s54
	s_delay_alu instid0(VALU_DEP_2) | instskip(NEXT) | instid1(VALU_DEP_1)
	v_mul_lo_u32 v13, v13, s55
	v_add3_u32 v4, v7, v4, v13
	s_cbranch_scc0 .LBB17_54
; %bb.55:                               ;   in Loop: Header=BB17_9 Depth=1
	s_mov_b32 s20, s31
	s_and_not1_b32 vcc_lo, exec_lo, s34
	s_cbranch_vccz .LBB17_58
	s_branch .LBB17_60
.LBB17_56:                              ;   in Loop: Header=BB17_9 Depth=1
                                        ; implicit-def: $vgpr4
	s_branch .LBB17_61
.LBB17_57:                              ;   in Loop: Header=BB17_9 Depth=1
	v_mov_b32_e32 v5, v3
	s_and_not1_b32 vcc_lo, exec_lo, s34
	s_cbranch_vccnz .LBB17_60
.LBB17_58:                              ;   in Loop: Header=BB17_9 Depth=1
	s_lshl_b32 s21, s20, 2
	s_mul_i32 s22, s20, 12
	s_add_u32 s20, s0, s21
	s_addc_u32 s21, s1, 0
	s_add_u32 s22, s18, s22
	s_addc_u32 s23, s19, 0
	s_mov_b32 s36, s29
	.p2align	6
.LBB17_59:                              ;   Parent Loop BB17_9 Depth=1
                                        ; =>  This Inner Loop Header: Depth=2
	s_clause 0x1
	s_load_b64 s[38:39], s[22:23], 0x4
	s_load_b32 s37, s[22:23], 0xc
	s_add_u32 s22, s22, 12
	s_addc_u32 s23, s23, 0
	s_waitcnt lgkmcnt(0)
	v_mul_hi_u32 v6, s39, v5
	s_load_b32 s39, s[20:21], 0x0
	s_add_u32 s20, s20, 4
	s_addc_u32 s21, s21, 0
	s_add_i32 s36, s36, -1
	s_delay_alu instid0(SALU_CYCLE_1) | instskip(NEXT) | instid1(VALU_DEP_1)
	s_cmp_lg_u32 s36, 0
	v_add_nc_u32_e32 v6, v5, v6
	s_delay_alu instid0(VALU_DEP_1) | instskip(NEXT) | instid1(VALU_DEP_1)
	v_lshrrev_b32_e32 v13, s37, v6
	v_mul_lo_u32 v6, v13, s38
	s_delay_alu instid0(VALU_DEP_1) | instskip(SKIP_1) | instid1(VALU_DEP_1)
	v_sub_nc_u32_e32 v5, v5, v6
	s_waitcnt lgkmcnt(0)
	v_mad_u64_u32 v[6:7], null, v5, s39, v[4:5]
	s_delay_alu instid0(VALU_DEP_1)
	v_dual_mov_b32 v5, v13 :: v_dual_mov_b32 v4, v6
	s_cbranch_scc1 .LBB17_59
.LBB17_60:                              ;   in Loop: Header=BB17_9 Depth=1
	s_cbranch_execnz .LBB17_63
.LBB17_61:                              ;   in Loop: Header=BB17_9 Depth=1
	v_mul_hi_u32 v4, v3, s6
	s_and_not1_b32 vcc_lo, exec_lo, s4
	s_delay_alu instid0(VALU_DEP_1) | instskip(NEXT) | instid1(VALU_DEP_1)
	v_add_nc_u32_e32 v4, v4, v3
	v_lshrrev_b32_e32 v5, s7, v4
	s_delay_alu instid0(VALU_DEP_1) | instskip(NEXT) | instid1(VALU_DEP_1)
	v_mul_lo_u32 v4, v5, s5
	v_sub_nc_u32_e32 v3, v3, v4
	s_delay_alu instid0(VALU_DEP_1)
	v_mul_lo_u32 v4, v3, s14
	s_cbranch_vccnz .LBB17_63
; %bb.62:                               ;   in Loop: Header=BB17_9 Depth=1
	v_mul_hi_u32 v3, s9, v5
	s_delay_alu instid0(VALU_DEP_1) | instskip(NEXT) | instid1(VALU_DEP_1)
	v_add_nc_u32_e32 v3, v5, v3
	v_lshrrev_b32_e32 v3, s10, v3
	s_delay_alu instid0(VALU_DEP_1) | instskip(NEXT) | instid1(VALU_DEP_1)
	v_mul_lo_u32 v3, v3, s8
	v_sub_nc_u32_e32 v3, v5, v3
	s_delay_alu instid0(VALU_DEP_1) | instskip(NEXT) | instid1(VALU_DEP_1)
	v_mad_u64_u32 v[5:6], null, v3, s15, v[4:5]
	v_mov_b32_e32 v4, v5
.LBB17_63:                              ;   in Loop: Header=BB17_9 Depth=1
	global_store_b16 v4, v38, s[12:13]
.LBB17_64:                              ;   in Loop: Header=BB17_9 Depth=1
	s_or_b32 exec_lo, exec_lo, s35
	v_add_co_u32 v3, vcc_lo, v10, s33
	v_add_co_ci_u32_e32 v4, vcc_lo, 0, v11, vcc_lo
	s_mov_b32 s35, exec_lo
	s_delay_alu instid0(VALU_DEP_1)
	v_cmpx_gt_i64_e64 s[16:17], v[3:4]
	s_cbranch_execz .LBB17_8
; %bb.65:                               ;   in Loop: Header=BB17_9 Depth=1
	s_and_not1_b32 vcc_lo, exec_lo, s11
	s_cbranch_vccnz .LBB17_71
; %bb.66:                               ;   in Loop: Header=BB17_9 Depth=1
	v_mov_b32_e32 v4, 0
	s_and_not1_b32 vcc_lo, exec_lo, s27
	s_cbranch_vccnz .LBB17_75
; %bb.67:                               ;   in Loop: Header=BB17_9 Depth=1
	s_and_not1_b32 vcc_lo, exec_lo, s30
	s_mov_b32 s20, 0
	s_cbranch_vccnz .LBB17_72
; %bb.68:                               ;   in Loop: Header=BB17_9 Depth=1
	v_dual_mov_b32 v4, 0 :: v_dual_mov_b32 v5, v3
	s_mov_b32 s36, 0
	s_mov_b64 s[20:21], s[18:19]
	s_mov_b64 s[22:23], s[0:1]
.LBB17_69:                              ;   Parent Loop BB17_9 Depth=1
                                        ; =>  This Inner Loop Header: Depth=2
	s_clause 0x1
	s_load_b256 s[40:47], s[20:21], 0x4
	s_load_b128 s[48:51], s[20:21], 0x24
	s_load_b128 s[52:55], s[22:23], 0x0
	s_add_u32 s20, s20, 48
	s_addc_u32 s21, s21, 0
	s_add_i32 s36, s36, 4
	s_add_u32 s22, s22, 16
	s_addc_u32 s23, s23, 0
	s_cmp_eq_u32 s31, s36
	s_waitcnt lgkmcnt(0)
	v_mul_hi_u32 v6, s41, v5
	s_delay_alu instid0(VALU_DEP_1) | instskip(NEXT) | instid1(VALU_DEP_1)
	v_add_nc_u32_e32 v6, v5, v6
	v_lshrrev_b32_e32 v6, s42, v6
	s_delay_alu instid0(VALU_DEP_1) | instskip(SKIP_1) | instid1(VALU_DEP_2)
	v_mul_hi_u32 v7, s44, v6
	v_mul_lo_u32 v40, v6, s40
	v_add_nc_u32_e32 v7, v6, v7
	s_delay_alu instid0(VALU_DEP_2) | instskip(NEXT) | instid1(VALU_DEP_2)
	v_sub_nc_u32_e32 v40, v5, v40
	v_lshrrev_b32_e32 v7, s45, v7
	s_delay_alu instid0(VALU_DEP_2) | instskip(NEXT) | instid1(VALU_DEP_2)
	v_mul_lo_u32 v40, v40, s52
	v_mul_hi_u32 v13, s47, v7
	v_mul_lo_u32 v41, v7, s43
	s_delay_alu instid0(VALU_DEP_2) | instskip(NEXT) | instid1(VALU_DEP_2)
	v_add_nc_u32_e32 v13, v7, v13
	v_sub_nc_u32_e32 v6, v6, v41
	s_delay_alu instid0(VALU_DEP_2) | instskip(NEXT) | instid1(VALU_DEP_2)
	v_lshrrev_b32_e32 v13, s48, v13
	v_mul_lo_u32 v6, v6, s53
	s_delay_alu instid0(VALU_DEP_2) | instskip(NEXT) | instid1(VALU_DEP_2)
	v_mul_hi_u32 v14, s50, v13
	v_add3_u32 v4, v40, v4, v6
	s_delay_alu instid0(VALU_DEP_2) | instskip(NEXT) | instid1(VALU_DEP_1)
	v_add_nc_u32_e32 v14, v13, v14
	v_lshrrev_b32_e32 v5, s51, v14
	v_mul_lo_u32 v14, v13, s46
	s_delay_alu instid0(VALU_DEP_2) | instskip(NEXT) | instid1(VALU_DEP_2)
	v_mul_lo_u32 v42, v5, s49
	v_sub_nc_u32_e32 v7, v7, v14
	s_delay_alu instid0(VALU_DEP_2) | instskip(NEXT) | instid1(VALU_DEP_2)
	v_sub_nc_u32_e32 v13, v13, v42
	v_mul_lo_u32 v7, v7, s54
	s_delay_alu instid0(VALU_DEP_2) | instskip(NEXT) | instid1(VALU_DEP_1)
	v_mul_lo_u32 v13, v13, s55
	v_add3_u32 v4, v7, v4, v13
	s_cbranch_scc0 .LBB17_69
; %bb.70:                               ;   in Loop: Header=BB17_9 Depth=1
	s_mov_b32 s20, s31
	s_and_not1_b32 vcc_lo, exec_lo, s34
	s_cbranch_vccz .LBB17_73
	s_branch .LBB17_75
.LBB17_71:                              ;   in Loop: Header=BB17_9 Depth=1
                                        ; implicit-def: $vgpr4
	s_branch .LBB17_76
.LBB17_72:                              ;   in Loop: Header=BB17_9 Depth=1
	v_mov_b32_e32 v5, v3
	s_and_not1_b32 vcc_lo, exec_lo, s34
	s_cbranch_vccnz .LBB17_75
.LBB17_73:                              ;   in Loop: Header=BB17_9 Depth=1
	s_lshl_b32 s21, s20, 2
	s_mul_i32 s22, s20, 12
	s_add_u32 s20, s0, s21
	s_addc_u32 s21, s1, 0
	s_add_u32 s22, s18, s22
	s_addc_u32 s23, s19, 0
	s_mov_b32 s36, s29
	.p2align	6
.LBB17_74:                              ;   Parent Loop BB17_9 Depth=1
                                        ; =>  This Inner Loop Header: Depth=2
	s_clause 0x1
	s_load_b64 s[38:39], s[22:23], 0x4
	s_load_b32 s37, s[22:23], 0xc
	s_add_u32 s22, s22, 12
	s_addc_u32 s23, s23, 0
	s_waitcnt lgkmcnt(0)
	v_mul_hi_u32 v6, s39, v5
	s_load_b32 s39, s[20:21], 0x0
	s_add_u32 s20, s20, 4
	s_addc_u32 s21, s21, 0
	s_add_i32 s36, s36, -1
	s_delay_alu instid0(SALU_CYCLE_1) | instskip(NEXT) | instid1(VALU_DEP_1)
	s_cmp_lg_u32 s36, 0
	v_add_nc_u32_e32 v6, v5, v6
	s_delay_alu instid0(VALU_DEP_1) | instskip(NEXT) | instid1(VALU_DEP_1)
	v_lshrrev_b32_e32 v13, s37, v6
	v_mul_lo_u32 v6, v13, s38
	s_delay_alu instid0(VALU_DEP_1) | instskip(SKIP_1) | instid1(VALU_DEP_1)
	v_sub_nc_u32_e32 v5, v5, v6
	s_waitcnt lgkmcnt(0)
	v_mad_u64_u32 v[6:7], null, v5, s39, v[4:5]
	s_delay_alu instid0(VALU_DEP_1)
	v_dual_mov_b32 v5, v13 :: v_dual_mov_b32 v4, v6
	s_cbranch_scc1 .LBB17_74
.LBB17_75:                              ;   in Loop: Header=BB17_9 Depth=1
	s_cbranch_execnz .LBB17_7
.LBB17_76:                              ;   in Loop: Header=BB17_9 Depth=1
	v_mul_hi_u32 v4, v3, s6
	s_and_not1_b32 vcc_lo, exec_lo, s4
	s_delay_alu instid0(VALU_DEP_1) | instskip(NEXT) | instid1(VALU_DEP_1)
	v_add_nc_u32_e32 v4, v4, v3
	v_lshrrev_b32_e32 v5, s7, v4
	s_delay_alu instid0(VALU_DEP_1) | instskip(NEXT) | instid1(VALU_DEP_1)
	v_mul_lo_u32 v4, v5, s5
	v_sub_nc_u32_e32 v3, v3, v4
	s_delay_alu instid0(VALU_DEP_1)
	v_mul_lo_u32 v4, v3, s14
	s_cbranch_vccnz .LBB17_7
; %bb.77:                               ;   in Loop: Header=BB17_9 Depth=1
	v_mul_hi_u32 v3, s9, v5
	s_delay_alu instid0(VALU_DEP_1) | instskip(NEXT) | instid1(VALU_DEP_1)
	v_add_nc_u32_e32 v3, v5, v3
	v_lshrrev_b32_e32 v3, s10, v3
	s_delay_alu instid0(VALU_DEP_1) | instskip(NEXT) | instid1(VALU_DEP_1)
	v_mul_lo_u32 v3, v3, s8
	v_sub_nc_u32_e32 v3, v5, v3
	s_delay_alu instid0(VALU_DEP_1) | instskip(NEXT) | instid1(VALU_DEP_1)
	v_mad_u64_u32 v[5:6], null, v3, s15, v[4:5]
	v_mov_b32_e32 v4, v5
	s_branch .LBB17_7
.LBB17_78:
	s_endpgm
.LBB17_79:
                                        ; implicit-def: $sgpr2_sgpr3
	s_branch .LBB17_4
	.section	.rodata,"a",@progbits
	.p2align	6, 0x0
	.amdhsa_kernel _ZN2at6native12_GLOBAL__N_143distribution_elementwise_grid_stride_kernelIfLi4EZNS0_9templates4cuda21uniform_and_transformIsfPNS_17CUDAGeneratorImplEZZZNS4_16geometric_kernelIS7_EEvRNS_18TensorIteratorBaseEdT_ENKUlvE_clEvENKUlvE3_clEvEUlfE_EEvSA_T1_T2_EUlP25hiprandStatePhilox4_32_10E_ZNS1_27distribution_nullary_kernelIsf15HIP_vector_typeIdLj2EES7_SJ_SE_EEvSA_SG_RKT3_T4_EUlifE0_EEvlNS_15PhiloxCudaStateESF_SG_
		.amdhsa_group_segment_fixed_size 0
		.amdhsa_private_segment_fixed_size 0
		.amdhsa_kernarg_size 584
		.amdhsa_user_sgpr_count 15
		.amdhsa_user_sgpr_dispatch_ptr 0
		.amdhsa_user_sgpr_queue_ptr 0
		.amdhsa_user_sgpr_kernarg_segment_ptr 1
		.amdhsa_user_sgpr_dispatch_id 0
		.amdhsa_user_sgpr_private_segment_size 0
		.amdhsa_wavefront_size32 1
		.amdhsa_uses_dynamic_stack 0
		.amdhsa_enable_private_segment 0
		.amdhsa_system_sgpr_workgroup_id_x 1
		.amdhsa_system_sgpr_workgroup_id_y 0
		.amdhsa_system_sgpr_workgroup_id_z 0
		.amdhsa_system_sgpr_workgroup_info 0
		.amdhsa_system_vgpr_workitem_id 0
		.amdhsa_next_free_vgpr 46
		.amdhsa_next_free_sgpr 56
		.amdhsa_reserve_vcc 1
		.amdhsa_float_round_mode_32 0
		.amdhsa_float_round_mode_16_64 0
		.amdhsa_float_denorm_mode_32 3
		.amdhsa_float_denorm_mode_16_64 3
		.amdhsa_dx10_clamp 1
		.amdhsa_ieee_mode 1
		.amdhsa_fp16_overflow 0
		.amdhsa_workgroup_processor_mode 1
		.amdhsa_memory_ordered 1
		.amdhsa_forward_progress 0
		.amdhsa_shared_vgpr_count 0
		.amdhsa_exception_fp_ieee_invalid_op 0
		.amdhsa_exception_fp_denorm_src 0
		.amdhsa_exception_fp_ieee_div_zero 0
		.amdhsa_exception_fp_ieee_overflow 0
		.amdhsa_exception_fp_ieee_underflow 0
		.amdhsa_exception_fp_ieee_inexact 0
		.amdhsa_exception_int_div_zero 0
	.end_amdhsa_kernel
	.section	.text._ZN2at6native12_GLOBAL__N_143distribution_elementwise_grid_stride_kernelIfLi4EZNS0_9templates4cuda21uniform_and_transformIsfPNS_17CUDAGeneratorImplEZZZNS4_16geometric_kernelIS7_EEvRNS_18TensorIteratorBaseEdT_ENKUlvE_clEvENKUlvE3_clEvEUlfE_EEvSA_T1_T2_EUlP25hiprandStatePhilox4_32_10E_ZNS1_27distribution_nullary_kernelIsf15HIP_vector_typeIdLj2EES7_SJ_SE_EEvSA_SG_RKT3_T4_EUlifE0_EEvlNS_15PhiloxCudaStateESF_SG_,"axG",@progbits,_ZN2at6native12_GLOBAL__N_143distribution_elementwise_grid_stride_kernelIfLi4EZNS0_9templates4cuda21uniform_and_transformIsfPNS_17CUDAGeneratorImplEZZZNS4_16geometric_kernelIS7_EEvRNS_18TensorIteratorBaseEdT_ENKUlvE_clEvENKUlvE3_clEvEUlfE_EEvSA_T1_T2_EUlP25hiprandStatePhilox4_32_10E_ZNS1_27distribution_nullary_kernelIsf15HIP_vector_typeIdLj2EES7_SJ_SE_EEvSA_SG_RKT3_T4_EUlifE0_EEvlNS_15PhiloxCudaStateESF_SG_,comdat
.Lfunc_end17:
	.size	_ZN2at6native12_GLOBAL__N_143distribution_elementwise_grid_stride_kernelIfLi4EZNS0_9templates4cuda21uniform_and_transformIsfPNS_17CUDAGeneratorImplEZZZNS4_16geometric_kernelIS7_EEvRNS_18TensorIteratorBaseEdT_ENKUlvE_clEvENKUlvE3_clEvEUlfE_EEvSA_T1_T2_EUlP25hiprandStatePhilox4_32_10E_ZNS1_27distribution_nullary_kernelIsf15HIP_vector_typeIdLj2EES7_SJ_SE_EEvSA_SG_RKT3_T4_EUlifE0_EEvlNS_15PhiloxCudaStateESF_SG_, .Lfunc_end17-_ZN2at6native12_GLOBAL__N_143distribution_elementwise_grid_stride_kernelIfLi4EZNS0_9templates4cuda21uniform_and_transformIsfPNS_17CUDAGeneratorImplEZZZNS4_16geometric_kernelIS7_EEvRNS_18TensorIteratorBaseEdT_ENKUlvE_clEvENKUlvE3_clEvEUlfE_EEvSA_T1_T2_EUlP25hiprandStatePhilox4_32_10E_ZNS1_27distribution_nullary_kernelIsf15HIP_vector_typeIdLj2EES7_SJ_SE_EEvSA_SG_RKT3_T4_EUlifE0_EEvlNS_15PhiloxCudaStateESF_SG_
                                        ; -- End function
	.section	.AMDGPU.csdata,"",@progbits
; Kernel info:
; codeLenInByte = 6516
; NumSgprs: 58
; NumVgprs: 46
; ScratchSize: 0
; MemoryBound: 0
; FloatMode: 240
; IeeeMode: 1
; LDSByteSize: 0 bytes/workgroup (compile time only)
; SGPRBlocks: 7
; VGPRBlocks: 5
; NumSGPRsForWavesPerEU: 58
; NumVGPRsForWavesPerEU: 46
; Occupancy: 16
; WaveLimiterHint : 1
; COMPUTE_PGM_RSRC2:SCRATCH_EN: 0
; COMPUTE_PGM_RSRC2:USER_SGPR: 15
; COMPUTE_PGM_RSRC2:TRAP_HANDLER: 0
; COMPUTE_PGM_RSRC2:TGID_X_EN: 1
; COMPUTE_PGM_RSRC2:TGID_Y_EN: 0
; COMPUTE_PGM_RSRC2:TGID_Z_EN: 0
; COMPUTE_PGM_RSRC2:TIDIG_COMP_CNT: 0
	.section	.text._ZN2at6native12_GLOBAL__N_143distribution_elementwise_grid_stride_kernelIfLi4EZNS0_9templates4cuda21uniform_and_transformIsfPNS_17CUDAGeneratorImplEZZZNS4_16geometric_kernelIS7_EEvRNS_18TensorIteratorBaseEdT_ENKUlvE_clEvENKUlvE3_clEvEUlfE_EEvSA_T1_T2_EUlP25hiprandStatePhilox4_32_10E0_ZNS1_27distribution_nullary_kernelIsf15HIP_vector_typeIfLj4EES7_SJ_SE_EEvSA_SG_RKT3_T4_EUlifE_EEvlNS_15PhiloxCudaStateESF_SG_,"axG",@progbits,_ZN2at6native12_GLOBAL__N_143distribution_elementwise_grid_stride_kernelIfLi4EZNS0_9templates4cuda21uniform_and_transformIsfPNS_17CUDAGeneratorImplEZZZNS4_16geometric_kernelIS7_EEvRNS_18TensorIteratorBaseEdT_ENKUlvE_clEvENKUlvE3_clEvEUlfE_EEvSA_T1_T2_EUlP25hiprandStatePhilox4_32_10E0_ZNS1_27distribution_nullary_kernelIsf15HIP_vector_typeIfLj4EES7_SJ_SE_EEvSA_SG_RKT3_T4_EUlifE_EEvlNS_15PhiloxCudaStateESF_SG_,comdat
	.globl	_ZN2at6native12_GLOBAL__N_143distribution_elementwise_grid_stride_kernelIfLi4EZNS0_9templates4cuda21uniform_and_transformIsfPNS_17CUDAGeneratorImplEZZZNS4_16geometric_kernelIS7_EEvRNS_18TensorIteratorBaseEdT_ENKUlvE_clEvENKUlvE3_clEvEUlfE_EEvSA_T1_T2_EUlP25hiprandStatePhilox4_32_10E0_ZNS1_27distribution_nullary_kernelIsf15HIP_vector_typeIfLj4EES7_SJ_SE_EEvSA_SG_RKT3_T4_EUlifE_EEvlNS_15PhiloxCudaStateESF_SG_ ; -- Begin function _ZN2at6native12_GLOBAL__N_143distribution_elementwise_grid_stride_kernelIfLi4EZNS0_9templates4cuda21uniform_and_transformIsfPNS_17CUDAGeneratorImplEZZZNS4_16geometric_kernelIS7_EEvRNS_18TensorIteratorBaseEdT_ENKUlvE_clEvENKUlvE3_clEvEUlfE_EEvSA_T1_T2_EUlP25hiprandStatePhilox4_32_10E0_ZNS1_27distribution_nullary_kernelIsf15HIP_vector_typeIfLj4EES7_SJ_SE_EEvSA_SG_RKT3_T4_EUlifE_EEvlNS_15PhiloxCudaStateESF_SG_
	.p2align	8
	.type	_ZN2at6native12_GLOBAL__N_143distribution_elementwise_grid_stride_kernelIfLi4EZNS0_9templates4cuda21uniform_and_transformIsfPNS_17CUDAGeneratorImplEZZZNS4_16geometric_kernelIS7_EEvRNS_18TensorIteratorBaseEdT_ENKUlvE_clEvENKUlvE3_clEvEUlfE_EEvSA_T1_T2_EUlP25hiprandStatePhilox4_32_10E0_ZNS1_27distribution_nullary_kernelIsf15HIP_vector_typeIfLj4EES7_SJ_SE_EEvSA_SG_RKT3_T4_EUlifE_EEvlNS_15PhiloxCudaStateESF_SG_,@function
_ZN2at6native12_GLOBAL__N_143distribution_elementwise_grid_stride_kernelIfLi4EZNS0_9templates4cuda21uniform_and_transformIsfPNS_17CUDAGeneratorImplEZZZNS4_16geometric_kernelIS7_EEvRNS_18TensorIteratorBaseEdT_ENKUlvE_clEvENKUlvE3_clEvEUlfE_EEvSA_T1_T2_EUlP25hiprandStatePhilox4_32_10E0_ZNS1_27distribution_nullary_kernelIsf15HIP_vector_typeIfLj4EES7_SJ_SE_EEvSA_SG_RKT3_T4_EUlifE_EEvlNS_15PhiloxCudaStateESF_SG_: ; @_ZN2at6native12_GLOBAL__N_143distribution_elementwise_grid_stride_kernelIfLi4EZNS0_9templates4cuda21uniform_and_transformIsfPNS_17CUDAGeneratorImplEZZZNS4_16geometric_kernelIS7_EEvRNS_18TensorIteratorBaseEdT_ENKUlvE_clEvENKUlvE3_clEvEUlfE_EEvSA_T1_T2_EUlP25hiprandStatePhilox4_32_10E0_ZNS1_27distribution_nullary_kernelIsf15HIP_vector_typeIfLj4EES7_SJ_SE_EEvSA_SG_RKT3_T4_EUlifE_EEvlNS_15PhiloxCudaStateESF_SG_
; %bb.0:
	s_clause 0x2
	s_load_b64 s[8:9], s[0:1], 0x10
	s_load_b128 s[4:7], s[0:1], 0x0
	s_load_b32 s2, s[0:1], 0x20
	s_waitcnt lgkmcnt(0)
	v_dual_mov_b32 v2, s8 :: v_dual_mov_b32 v3, s9
	v_dual_mov_b32 v12, s7 :: v_dual_mov_b32 v11, s6
	s_bitcmp0_b32 s2, 0
	s_mov_b32 s2, 0
	s_cbranch_scc1 .LBB18_2
; %bb.1:
	v_dual_mov_b32 v1, s8 :: v_dual_mov_b32 v2, s9
	v_dual_mov_b32 v4, s6 :: v_dual_mov_b32 v5, s7
	s_load_b64 s[6:7], s[0:1], 0x18
	flat_load_b64 v[2:3], v[1:2]
	flat_load_b64 v[11:12], v[4:5]
	s_waitcnt vmcnt(1) lgkmcnt(0)
	v_add_co_u32 v2, vcc_lo, v2, s6
	v_add_co_ci_u32_e32 v3, vcc_lo, s7, v3, vcc_lo
.LBB18_2:
	s_clause 0x1
	s_load_b32 s3, s[0:1], 0x54
	s_load_b32 s11, s[0:1], 0x48
	s_waitcnt lgkmcnt(0)
	s_and_b32 s10, s3, 0xffff
	s_add_u32 s6, s4, -1
	s_mul_i32 s8, s11, s10
	s_addc_u32 s3, s5, -1
	s_lshl_b32 s9, s8, 2
	s_cmp_lg_u64 s[2:3], 0
	s_cbranch_scc0 .LBB18_27
; %bb.3:
	v_cvt_f32_ubyte0_e32 v1, 0
	v_cvt_f32_u32_e32 v4, s9
	s_sub_u32 s12, 0, s9
	s_subb_u32 s13, 0, 0
	s_delay_alu instid0(VALU_DEP_1) | instskip(NEXT) | instid1(VALU_DEP_1)
	v_fmamk_f32 v1, v1, 0x4f800000, v4
	v_rcp_f32_e32 v1, v1
	s_waitcnt_depctr 0xfff
	v_mul_f32_e32 v1, 0x5f7ffffc, v1
	s_delay_alu instid0(VALU_DEP_1) | instskip(NEXT) | instid1(VALU_DEP_1)
	v_mul_f32_e32 v4, 0x2f800000, v1
	v_trunc_f32_e32 v4, v4
	s_delay_alu instid0(VALU_DEP_1) | instskip(SKIP_1) | instid1(VALU_DEP_2)
	v_fmamk_f32 v1, v4, 0xcf800000, v1
	v_cvt_u32_f32_e32 v4, v4
	v_cvt_u32_f32_e32 v1, v1
	s_delay_alu instid0(VALU_DEP_2) | instskip(NEXT) | instid1(VALU_DEP_2)
	v_readfirstlane_b32 s2, v4
	v_readfirstlane_b32 s7, v1
	s_delay_alu instid0(VALU_DEP_2) | instskip(NEXT) | instid1(VALU_DEP_1)
	s_mul_i32 s14, s12, s2
	s_mul_hi_u32 s17, s12, s7
	s_mul_i32 s16, s13, s7
	s_add_i32 s14, s17, s14
	s_mul_i32 s18, s12, s7
	s_add_i32 s14, s14, s16
	s_mul_hi_u32 s17, s7, s18
	s_mul_hi_u32 s19, s2, s18
	s_mul_i32 s16, s2, s18
	s_mul_hi_u32 s18, s7, s14
	s_mul_i32 s7, s7, s14
	s_mul_hi_u32 s20, s2, s14
	s_add_u32 s7, s17, s7
	s_addc_u32 s17, 0, s18
	s_add_u32 s7, s7, s16
	s_mul_i32 s14, s2, s14
	s_addc_u32 s7, s17, s19
	s_addc_u32 s16, s20, 0
	s_add_u32 s7, s7, s14
	s_addc_u32 s14, 0, s16
	v_add_co_u32 v1, s7, v1, s7
	s_delay_alu instid0(VALU_DEP_1) | instskip(SKIP_1) | instid1(VALU_DEP_1)
	s_cmp_lg_u32 s7, 0
	s_addc_u32 s2, s2, s14
	v_readfirstlane_b32 s7, v1
	s_mul_i32 s14, s12, s2
	s_delay_alu instid0(VALU_DEP_1)
	s_mul_hi_u32 s16, s12, s7
	s_mul_i32 s13, s13, s7
	s_add_i32 s14, s16, s14
	s_mul_i32 s12, s12, s7
	s_add_i32 s14, s14, s13
	s_mul_hi_u32 s16, s2, s12
	s_mul_i32 s17, s2, s12
	s_mul_hi_u32 s12, s7, s12
	s_mul_hi_u32 s18, s7, s14
	s_mul_i32 s7, s7, s14
	s_mul_hi_u32 s13, s2, s14
	s_add_u32 s7, s12, s7
	s_addc_u32 s12, 0, s18
	s_add_u32 s7, s7, s17
	s_mul_i32 s14, s2, s14
	s_addc_u32 s7, s12, s16
	s_addc_u32 s12, s13, 0
	s_add_u32 s7, s7, s14
	s_addc_u32 s12, 0, s12
	v_add_co_u32 v1, s7, v1, s7
	s_delay_alu instid0(VALU_DEP_1) | instskip(SKIP_2) | instid1(VALU_DEP_1)
	s_cmp_lg_u32 s7, 0
	s_addc_u32 s7, s2, s12
	s_ashr_i32 s12, s3, 31
	v_readfirstlane_b32 s14, v1
	s_add_u32 s2, s6, s12
	s_mov_b32 s13, s12
	s_addc_u32 s3, s3, s12
	s_delay_alu instid0(SALU_CYCLE_1) | instskip(NEXT) | instid1(SALU_CYCLE_1)
	s_xor_b64 s[2:3], s[2:3], s[12:13]
	s_mul_i32 s17, s2, s7
	s_mul_hi_u32 s18, s2, s14
	s_mul_hi_u32 s16, s2, s7
	;; [unrolled: 1-line block ×3, first 2 shown]
	s_mul_i32 s14, s3, s14
	s_add_u32 s17, s18, s17
	s_addc_u32 s16, 0, s16
	s_mul_hi_u32 s19, s3, s7
	s_add_u32 s14, s17, s14
	s_mul_i32 s7, s3, s7
	s_addc_u32 s14, s16, s20
	s_addc_u32 s16, s19, 0
	s_add_u32 s7, s14, s7
	s_addc_u32 s14, 0, s16
	s_mul_i32 s17, s9, s7
	s_add_u32 s16, s7, 1
	v_sub_co_u32 v1, s2, s2, s17
	s_mul_hi_u32 s17, s9, s7
	s_addc_u32 s18, s14, 0
	s_mul_i32 s19, s9, s14
	s_delay_alu instid0(VALU_DEP_1)
	v_sub_co_u32 v4, s20, v1, s9
	s_add_u32 s21, s7, 2
	s_addc_u32 s22, s14, 0
	s_add_i32 s17, s17, s19
	s_cmp_lg_u32 s2, 0
	v_readfirstlane_b32 s2, v4
	s_subb_u32 s3, s3, s17
	s_cmp_lg_u32 s20, 0
	s_subb_u32 s17, s3, 0
	s_delay_alu instid0(VALU_DEP_1) | instskip(SKIP_4) | instid1(SALU_CYCLE_1)
	s_cmp_ge_u32 s2, s9
	s_cselect_b32 s2, -1, 0
	s_cmp_eq_u32 s17, 0
	v_readfirstlane_b32 s17, v1
	s_cselect_b32 s2, s2, -1
	s_cmp_lg_u32 s2, 0
	s_cselect_b32 s2, s21, s16
	s_cselect_b32 s16, s22, s18
	s_cmp_ge_u32 s17, s9
	s_cselect_b32 s17, -1, 0
	s_cmp_eq_u32 s3, 0
	s_cselect_b32 s3, s17, -1
	s_delay_alu instid0(SALU_CYCLE_1) | instskip(SKIP_2) | instid1(SALU_CYCLE_1)
	s_cmp_lg_u32 s3, 0
	s_cselect_b32 s3, s16, s14
	s_cselect_b32 s2, s2, s7
	s_xor_b64 s[2:3], s[2:3], s[12:13]
	s_delay_alu instid0(SALU_CYCLE_1)
	s_sub_u32 s2, s2, s12
	s_subb_u32 s3, s3, s12
	s_cbranch_execnz .LBB18_5
.LBB18_4:
	v_cvt_f32_u32_e32 v1, s9
	s_sub_i32 s3, 0, s9
	s_delay_alu instid0(VALU_DEP_1) | instskip(SKIP_2) | instid1(VALU_DEP_1)
	v_rcp_iflag_f32_e32 v1, v1
	s_waitcnt_depctr 0xfff
	v_mul_f32_e32 v1, 0x4f7ffffe, v1
	v_cvt_u32_f32_e32 v1, v1
	s_delay_alu instid0(VALU_DEP_1) | instskip(NEXT) | instid1(VALU_DEP_1)
	v_readfirstlane_b32 s2, v1
	s_mul_i32 s3, s3, s2
	s_delay_alu instid0(SALU_CYCLE_1) | instskip(NEXT) | instid1(SALU_CYCLE_1)
	s_mul_hi_u32 s3, s2, s3
	s_add_i32 s2, s2, s3
	s_delay_alu instid0(SALU_CYCLE_1) | instskip(NEXT) | instid1(SALU_CYCLE_1)
	s_mul_hi_u32 s2, s6, s2
	s_mul_i32 s3, s2, s9
	s_delay_alu instid0(SALU_CYCLE_1)
	s_sub_i32 s3, s6, s3
	s_add_i32 s6, s2, 1
	s_sub_i32 s7, s3, s9
	s_cmp_ge_u32 s3, s9
	s_cselect_b32 s2, s6, s2
	s_cselect_b32 s3, s7, s3
	s_add_i32 s6, s2, 1
	s_cmp_ge_u32 s3, s9
	s_mov_b32 s3, 0
	s_cselect_b32 s2, s6, s2
.LBB18_5:
	v_mov_b32_e32 v1, 0
	s_add_u32 s2, s2, 1
	s_addc_u32 s3, s3, 0
	s_mul_hi_u32 s6, s8, s2
	s_mul_i32 s3, s8, s3
	v_mad_u64_u32 v[13:14], null, s10, s15, v[0:1]
	s_mul_hi_u32 s7, s11, s10
	s_add_i32 s3, s6, s3
	s_mul_i32 s7, s7, s2
	s_mul_i32 s2, s8, s2
	s_add_i32 s3, s3, s7
	s_mov_b32 s6, exec_lo
	s_lshl_b64 s[2:3], s[2:3], 2
	s_delay_alu instid0(SALU_CYCLE_1)
	v_cmpx_gt_i64_e64 s[2:3], v[13:14]
	s_cbranch_execz .LBB18_26
; %bb.6:
	s_load_b64 s[6:7], s[0:1], 0x40
	v_alignbit_b32 v24, v3, v2, 2
	v_lshrrev_b32_e32 v25, 2, v3
	s_mov_b32 s13, 0x3e9b6dac
	s_waitcnt vmcnt(0)
	v_add_co_u32 v23, null, 0x9e3779b9, v11
	v_add_co_u32 v22, null, 0xdaa66d2b, v11
	;; [unrolled: 1-line block ×4, first 2 shown]
	s_mul_i32 s14, s11, 3
	v_add_co_u32 v28, null, 0xb54cda56, v11
	s_add_i32 s14, s15, s14
	v_add_co_u32 v20, null, 0x5384540f, v11
	s_lshl_b32 s16, s11, 1
	v_add_nc_u32_e32 v18, 0x8ff34781, v11
	s_waitcnt lgkmcnt(0)
	v_cvt_f32_f64_e32 v43, s[6:7]
	s_clause 0x1
	s_load_b64 s[6:7], s[0:1], 0x30
	s_load_b32 s12, s[0:1], 0x38
	s_mov_b32 s0, 0
	s_lshl_b32 s1, s8, 1
	v_add_nc_u32_e32 v19, 0x96a522ad, v12
	s_delay_alu instid0(VALU_DEP_2) | instskip(NEXT) | instid1(VALU_DEP_1)
	v_sub_f32_e32 v1, 1.0, v43
	v_cvt_f64_f32_e32 v[4:5], v1
	s_delay_alu instid0(VALU_DEP_1) | instskip(SKIP_1) | instid1(VALU_DEP_1)
	v_frexp_exp_i32_f64_e32 v4, v[4:5]
	v_frexp_mant_f32_e32 v5, v1
	v_cmp_gt_f32_e32 vcc_lo, 0x3f2aaaab, v5
	s_delay_alu instid0(VALU_DEP_3) | instskip(SKIP_2) | instid1(VALU_DEP_3)
	v_subrev_co_ci_u32_e32 v10, vcc_lo, 0, v4, vcc_lo
	v_add_f32_e32 v4, -1.0, v1
	v_cmp_eq_f32_e32 vcc_lo, 0xff800000, v43
	v_sub_nc_u32_e32 v5, 0, v10
	v_cvt_f32_i32_e32 v10, v10
	s_delay_alu instid0(VALU_DEP_4) | instskip(SKIP_1) | instid1(VALU_DEP_3)
	v_sub_f32_e32 v6, v4, v1
	v_sub_f32_e64 v4, -v43, v4
	v_mul_f32_e32 v37, 0x3f317218, v10
	s_delay_alu instid0(VALU_DEP_3) | instskip(SKIP_1) | instid1(VALU_DEP_1)
	v_add_f32_e32 v6, 1.0, v6
	v_ldexp_f32 v1, v1, v5
	v_dual_add_f32 v4, v4, v6 :: v_dual_add_f32 v7, 1.0, v1
	s_delay_alu instid0(VALU_DEP_1) | instskip(NEXT) | instid1(VALU_DEP_2)
	v_ldexp_f32 v4, v4, v5
	v_dual_add_f32 v6, -1.0, v7 :: v_dual_add_f32 v5, -1.0, v1
	s_delay_alu instid0(VALU_DEP_1) | instskip(NEXT) | instid1(VALU_DEP_2)
	v_sub_f32_e32 v6, v1, v6
	v_add_f32_e32 v8, 1.0, v5
	s_delay_alu instid0(VALU_DEP_1) | instskip(NEXT) | instid1(VALU_DEP_1)
	v_sub_f32_e32 v1, v1, v8
	v_add_f32_e32 v1, v4, v1
	s_delay_alu instid0(VALU_DEP_4) | instskip(NEXT) | instid1(VALU_DEP_2)
	v_add_f32_e32 v6, v4, v6
	v_add_f32_e32 v4, v5, v1
	s_delay_alu instid0(VALU_DEP_1) | instskip(NEXT) | instid1(VALU_DEP_1)
	v_sub_f32_e32 v5, v4, v5
	v_dual_sub_f32 v1, v1, v5 :: v_dual_add_f32 v8, v7, v6
	s_delay_alu instid0(VALU_DEP_1) | instskip(SKIP_3) | instid1(VALU_DEP_2)
	v_rcp_f32_e32 v9, v8
	s_waitcnt_depctr 0xfff
	v_mul_f32_e32 v15, v4, v9
	v_sub_f32_e32 v7, v8, v7
	v_mul_f32_e32 v16, v8, v15
	s_delay_alu instid0(VALU_DEP_2) | instskip(NEXT) | instid1(VALU_DEP_2)
	v_sub_f32_e32 v6, v6, v7
	v_fma_f32 v7, v15, v8, -v16
	s_delay_alu instid0(VALU_DEP_1) | instskip(NEXT) | instid1(VALU_DEP_1)
	v_fmac_f32_e32 v7, v15, v6
	v_add_f32_e32 v17, v16, v7
	s_delay_alu instid0(VALU_DEP_1) | instskip(NEXT) | instid1(VALU_DEP_1)
	v_sub_f32_e32 v26, v4, v17
	v_sub_f32_e32 v4, v4, v26
	s_delay_alu instid0(VALU_DEP_1) | instskip(NEXT) | instid1(VALU_DEP_1)
	v_sub_f32_e32 v4, v4, v17
	v_add_f32_e32 v1, v1, v4
	v_sub_f32_e32 v5, v17, v16
	v_and_b32_e32 v17, 3, v2
	s_delay_alu instid0(VALU_DEP_2) | instskip(NEXT) | instid1(VALU_DEP_1)
	v_sub_f32_e32 v5, v5, v7
	v_add_f32_e32 v4, v5, v1
	v_mad_u64_u32 v[1:2], null, 0xcd9e8d57, v13, 0
	s_delay_alu instid0(VALU_DEP_2) | instskip(NEXT) | instid1(VALU_DEP_2)
	v_add_f32_e32 v5, v26, v4
	v_xor3_b32 v2, v11, v2, v25
	s_delay_alu instid0(VALU_DEP_2) | instskip(NEXT) | instid1(VALU_DEP_1)
	v_mul_f32_e32 v7, v9, v5
	v_mul_f32_e32 v16, v8, v7
	v_dual_mov_b32 v38, v12 :: v_dual_sub_f32 v3, v26, v5
	v_add_co_u32 v26, null, 0x3c6ef372, v11
	s_delay_alu instid0(VALU_DEP_3) | instskip(NEXT) | instid1(VALU_DEP_3)
	v_fma_f32 v8, v7, v8, -v16
	v_add_co_u32 v31, null, 0x76cf5d0a, v38
	s_delay_alu instid0(VALU_DEP_4) | instskip(SKIP_1) | instid1(VALU_DEP_4)
	v_add_f32_e32 v29, v4, v3
	v_mad_u64_u32 v[3:4], null, 0xd2511f53, v24, 0
	v_fmac_f32_e32 v8, v7, v6
	v_add_co_u32 v32, null, 0x32370b8f, v38
	v_add_co_u32 v35, null, 0xa9066899, v38
	s_delay_alu instid0(VALU_DEP_3) | instskip(NEXT) | instid1(VALU_DEP_1)
	v_add_f32_e32 v6, v16, v8
	v_sub_f32_e32 v30, v5, v6
	s_delay_alu instid0(VALU_DEP_1) | instskip(NEXT) | instid1(VALU_DEP_1)
	v_dual_sub_f32 v5, v5, v30 :: v_dual_sub_f32 v16, v6, v16
	v_dual_sub_f32 v5, v5, v6 :: v_dual_sub_f32 v6, v16, v8
	v_add_f32_e32 v16, v15, v7
	v_xor_b32_e32 v8, v4, v12
	s_delay_alu instid0(VALU_DEP_3) | instskip(SKIP_1) | instid1(VALU_DEP_3)
	v_add_f32_e32 v5, v29, v5
	v_add_co_u32 v29, null, 0xf1bbcdc8, v11
	v_xor_b32_e32 v8, v8, v14
	s_delay_alu instid0(VALU_DEP_3) | instskip(SKIP_2) | instid1(VALU_DEP_1)
	v_add_f32_e32 v6, v6, v5
	v_mad_u64_u32 v[4:5], null, 0xd2511f53, v2, 0
	v_sub_f32_e32 v2, v16, v15
	v_sub_f32_e32 v7, v7, v2
	s_delay_alu instid0(VALU_DEP_4) | instskip(SKIP_1) | instid1(VALU_DEP_2)
	v_add_f32_e32 v6, v30, v6
	v_add_co_u32 v30, null, 0xbb67ae85, v38
	v_mul_f32_e32 v6, v9, v6
	s_delay_alu instid0(VALU_DEP_2) | instskip(SKIP_1) | instid1(VALU_DEP_3)
	v_xor3_b32 v9, v30, v5, v3
	v_mad_u64_u32 v[2:3], null, 0xcd9e8d57, v8, 0
	v_add_f32_e32 v15, v7, v6
	s_delay_alu instid0(VALU_DEP_3) | instskip(SKIP_1) | instid1(VALU_DEP_3)
	v_mad_u64_u32 v[5:6], null, 0xcd9e8d57, v9, 0
	v_mad_u64_u32 v[7:8], null, s15, s10, v[0:1]
	v_add_f32_e32 v33, v16, v15
	v_xor3_b32 v3, v23, v3, v1
	s_delay_alu instid0(VALU_DEP_4) | instskip(NEXT) | instid1(VALU_DEP_3)
	v_xor3_b32 v6, v26, v6, v2
	v_mul_f32_e32 v34, v33, v33
	s_delay_alu instid0(VALU_DEP_3) | instskip(NEXT) | instid1(VALU_DEP_3)
	v_mad_u64_u32 v[1:2], null, 0xd2511f53, v3, 0
	v_mad_u64_u32 v[8:9], null, 0xd2511f53, v6, 0
	s_delay_alu instid0(VALU_DEP_3)
	v_fmaak_f32 v3, s13, v34, 0x3ecc95a3
	v_mul_f32_e32 v6, v33, v34
	v_sub_f32_e32 v16, v33, v16
	v_xor3_b32 v4, v31, v2, v4
	s_add_i32 s13, s15, s11
	v_fmaak_f32 v3, v34, v3, 0x3f2aaada
	v_ldexp_f32 v34, v33, 1
	v_xor3_b32 v9, v32, v9, v1
	v_mad_u64_u32 v[1:2], null, 0xcd9e8d57, v4, 0
	s_delay_alu instid0(VALU_DEP_4) | instskip(NEXT) | instid1(VALU_DEP_3)
	v_dual_mul_f32 v6, v6, v3 :: v_dual_mov_b32 v33, v13
	v_mad_u64_u32 v[3:4], null, 0xcd9e8d57, v9, 0
	s_delay_alu instid0(VALU_DEP_2) | instskip(SKIP_3) | instid1(VALU_DEP_3)
	v_dual_sub_f32 v9, v15, v16 :: v_dual_add_f32 v36, v34, v6
	v_fma_f32 v16, 0x3f317218, v10, -v37
	v_xor3_b32 v5, v22, v2, v5
	s_add_i32 s15, s15, s16
	v_ldexp_f32 v9, v9, 1
	s_delay_alu instid0(VALU_DEP_3) | instskip(SKIP_3) | instid1(VALU_DEP_2)
	v_dual_sub_f32 v15, v36, v34 :: v_dual_fmamk_f32 v16, v10, 0xb102e308, v16
	v_add_co_u32 v34, null, 0xed9eba14, v38
	s_waitcnt lgkmcnt(0)
	s_mul_i32 s11, s11, s12
	v_dual_sub_f32 v6, v6, v15 :: v_dual_add_f32 v39, v37, v16
	v_xor3_b32 v15, v27, v4, v1
	v_mad_u64_u32 v[1:2], null, 0xd2511f53, v5, 0
	s_delay_alu instid0(VALU_DEP_3) | instskip(NEXT) | instid1(VALU_DEP_3)
	v_dual_add_f32 v6, v9, v6 :: v_dual_sub_f32 v37, v39, v37
	v_mad_u64_u32 v[4:5], null, 0xd2511f53, v15, 0
	s_mul_i32 s11, s11, s10
	s_delay_alu instid0(VALU_DEP_2) | instskip(NEXT) | instid1(VALU_DEP_4)
	v_add_f32_e32 v40, v36, v6
	v_xor3_b32 v2, v34, v2, v8
	v_mad_u64_u32 v[8:9], null, s13, s10, v[0:1]
	s_lshl_b32 s11, s11, 2
	s_delay_alu instid0(VALU_DEP_3) | instskip(SKIP_2) | instid1(VALU_DEP_3)
	v_add_f32_e32 v41, v39, v40
	v_xor3_b32 v5, v35, v5, v1
	v_mad_u64_u32 v[9:10], null, 0xcd9e8d57, v2, 0
	v_sub_f32_e32 v15, v41, v39
	s_delay_alu instid0(VALU_DEP_3) | instskip(NEXT) | instid1(VALU_DEP_2)
	v_mad_u64_u32 v[1:2], null, 0xcd9e8d57, v5, 0
	v_dual_sub_f32 v42, v16, v37 :: v_dual_sub_f32 v5, v41, v15
	s_delay_alu instid0(VALU_DEP_4) | instskip(SKIP_1) | instid1(VALU_DEP_4)
	v_xor3_b32 v3, v21, v10, v3
	v_sub_f32_e32 v10, v40, v15
	v_xor3_b32 v9, v28, v2, v9
	s_delay_alu instid0(VALU_DEP_4) | instskip(NEXT) | instid1(VALU_DEP_1)
	v_dual_sub_f32 v15, v39, v5 :: v_dual_sub_f32 v36, v40, v36
	v_sub_f32_e32 v44, v6, v36
	v_mad_u64_u32 v[5:6], null, 0xd2511f53, v3, 0
	v_add_co_u32 v36, null, 0x646e171e, v38
	s_delay_alu instid0(VALU_DEP_3) | instskip(SKIP_2) | instid1(VALU_DEP_4)
	v_add_f32_e32 v37, v42, v44
	v_add_f32_e32 v3, v10, v15
	v_mad_u64_u32 v[15:16], null, s14, s10, v[0:1]
	v_xor3_b32 v4, v36, v6, v4
	s_delay_alu instid0(VALU_DEP_3) | instskip(SKIP_1) | instid1(VALU_DEP_3)
	v_add_f32_e32 v16, v37, v3
	v_mad_u64_u32 v[2:3], null, 0xd2511f53, v9, 0
	v_mad_u64_u32 v[9:10], null, 0xcd9e8d57, v4, 0
	s_delay_alu instid0(VALU_DEP_3) | instskip(NEXT) | instid1(VALU_DEP_1)
	v_add_f32_e32 v40, v41, v16
	v_dual_sub_f32 v6, v37, v42 :: v_dual_sub_f32 v39, v40, v41
	s_delay_alu instid0(VALU_DEP_1) | instskip(SKIP_2) | instid1(VALU_DEP_4)
	v_sub_f32_e32 v4, v37, v6
	v_add_co_u32 v37, null, 0x1fd5c5a3, v38
	v_sub_f32_e32 v6, v44, v6
	v_sub_f32_e32 v16, v16, v39
	s_delay_alu instid0(VALU_DEP_4) | instskip(NEXT) | instid1(VALU_DEP_4)
	v_sub_f32_e32 v4, v42, v4
	v_xor3_b32 v3, v37, v3, v5
	v_xor3_b32 v10, v20, v10, v1
	v_mad_u64_u32 v[41:42], null, s15, s10, v[0:1]
	s_delay_alu instid0(VALU_DEP_4) | instskip(NEXT) | instid1(VALU_DEP_4)
	v_add_f32_e32 v6, v6, v4
	v_mad_u64_u32 v[0:1], null, 0xcd9e8d57, v3, 0
	s_delay_alu instid0(VALU_DEP_4) | instskip(NEXT) | instid1(VALU_DEP_3)
	v_mad_u64_u32 v[4:5], null, 0xd2511f53, v10, 0
	v_add_f32_e32 v3, v6, v16
	v_add_co_u32 v38, null, 0xdb3d7428, v38
	v_mul_lo_u32 v39, s12, v7
	v_xor3_b32 v1, v29, v1, v9
	s_delay_alu instid0(VALU_DEP_4) | instskip(NEXT) | instid1(VALU_DEP_4)
	v_add_f32_e32 v3, v40, v3
	v_xor3_b32 v7, v38, v5, v2
	v_cmp_gt_f32_e64 s10, 0x33800000, |v43|
	v_mul_lo_u32 v40, s12, v15
	v_mad_u64_u32 v[5:6], null, 0xd2511f53, v1, 0
	v_cndmask_b32_e64 v3, v3, -v43, vcc_lo
	v_cmp_nlt_f32_e32 vcc_lo, 1.0, v43
	v_mad_u64_u32 v[1:2], null, 0xcd9e8d57, v7, 0
	v_mul_lo_u32 v41, s12, v41
	v_mul_lo_u32 v42, s12, v8
	v_cndmask_b32_e32 v3, 0x7fc00000, v3, vcc_lo
	v_cmp_neq_f32_e32 vcc_lo, 1.0, v43
	v_mov_b32_e32 v44, v14
	s_mov_b32 s12, 0
	v_xor3_b32 v0, v2, v0, v18
	v_xor3_b32 v2, v6, v4, v19
	v_cndmask_b32_e32 v7, 0xff800000, v3, vcc_lo
	v_mov_b32_e32 v3, v5
	s_delay_alu instid0(VALU_DEP_2)
	v_cndmask_b32_e64 v43, v7, -v43, s10
	s_mul_i32 s10, s8, 3
	s_branch .LBB18_8
.LBB18_7:                               ;   in Loop: Header=BB18_8 Depth=1
	s_or_b32 exec_lo, exec_lo, s13
	v_add_co_u32 v13, vcc_lo, v13, s9
	v_add_co_ci_u32_e32 v14, vcc_lo, 0, v14, vcc_lo
	v_mov_b32_e32 v7, v15
	v_dual_mov_b32 v0, v4 :: v_dual_mov_b32 v1, v5
	s_delay_alu instid0(VALU_DEP_3) | instskip(NEXT) | instid1(VALU_DEP_3)
	v_cmp_le_i64_e32 vcc_lo, s[2:3], v[13:14]
	v_dual_mov_b32 v2, v6 :: v_dual_mov_b32 v3, v7
	s_add_i32 s12, s12, s11
	s_waitcnt_vscnt null, 0x0
	s_barrier
	s_or_b32 s0, vcc_lo, s0
	buffer_gl0_inv
	s_and_not1_b32 exec_lo, exec_lo, s0
	s_cbranch_execz .LBB18_26
.LBB18_8:                               ; =>This Inner Loop Header: Depth=1
	v_add_co_u32 v24, vcc_lo, v24, 1
	s_delay_alu instid0(VALU_DEP_1) | instskip(SKIP_2) | instid1(VALU_DEP_1)
	v_cndmask_b32_e64 v4, 0, 1, vcc_lo
	v_add_co_ci_u32_e32 v25, vcc_lo, 0, v25, vcc_lo
	s_mov_b32 s13, exec_lo
	v_cmp_eq_u32_e32 vcc_lo, 0, v25
	s_delay_alu instid0(VALU_DEP_3) | instskip(NEXT) | instid1(VALU_DEP_1)
	v_cndmask_b32_e32 v4, 0, v4, vcc_lo
	v_add_nc_u32_e32 v33, v4, v33
	s_delay_alu instid0(VALU_DEP_1) | instskip(SKIP_2) | instid1(VALU_DEP_2)
	v_cmp_eq_u32_e32 vcc_lo, 0, v33
	v_cndmask_b32_e32 v4, 0, v4, vcc_lo
	v_mad_u64_u32 v[6:7], null, 0xcd9e8d57, v33, 0
	v_add_nc_u32_e32 v44, v4, v44
	v_mad_u64_u32 v[4:5], null, 0xd2511f53, v24, 0
	s_delay_alu instid0(VALU_DEP_3) | instskip(NEXT) | instid1(VALU_DEP_2)
	v_xor3_b32 v9, v7, v11, v25
	v_xor_b32_e32 v5, v5, v12
	s_delay_alu instid0(VALU_DEP_2) | instskip(NEXT) | instid1(VALU_DEP_2)
	v_mad_u64_u32 v[7:8], null, 0xd2511f53, v9, 0
	v_xor_b32_e32 v5, v44, v5
	s_delay_alu instid0(VALU_DEP_2) | instskip(NEXT) | instid1(VALU_DEP_2)
	v_xor3_b32 v8, v30, v8, v4
	v_mad_u64_u32 v[9:10], null, 0xcd9e8d57, v5, 0
	s_delay_alu instid0(VALU_DEP_2) | instskip(NEXT) | instid1(VALU_DEP_2)
	v_mad_u64_u32 v[4:5], null, 0xcd9e8d57, v8, 0
	v_xor3_b32 v6, v23, v10, v6
	s_delay_alu instid0(VALU_DEP_2) | instskip(NEXT) | instid1(VALU_DEP_2)
	v_xor3_b32 v8, v26, v5, v9
	v_mad_u64_u32 v[15:16], null, 0xd2511f53, v6, 0
	s_delay_alu instid0(VALU_DEP_2) | instskip(NEXT) | instid1(VALU_DEP_2)
	v_mad_u64_u32 v[5:6], null, 0xd2511f53, v8, 0
	v_xor3_b32 v9, v31, v16, v7
	s_delay_alu instid0(VALU_DEP_2) | instskip(NEXT) | instid1(VALU_DEP_2)
	v_xor3_b32 v6, v32, v6, v15
	v_mad_u64_u32 v[7:8], null, 0xcd9e8d57, v9, 0
	s_delay_alu instid0(VALU_DEP_1) | instskip(NEXT) | instid1(VALU_DEP_3)
	v_xor3_b32 v4, v22, v8, v4
	v_mad_u64_u32 v[8:9], null, 0xcd9e8d57, v6, 0
	s_delay_alu instid0(VALU_DEP_2) | instskip(NEXT) | instid1(VALU_DEP_2)
	v_mad_u64_u32 v[15:16], null, 0xd2511f53, v4, 0
	v_xor3_b32 v6, v27, v9, v7
	s_delay_alu instid0(VALU_DEP_2) | instskip(NEXT) | instid1(VALU_DEP_2)
	v_xor3_b32 v9, v34, v16, v5
	v_mad_u64_u32 v[4:5], null, 0xd2511f53, v6, 0
	s_delay_alu instid0(VALU_DEP_2) | instskip(NEXT) | instid1(VALU_DEP_2)
	v_mad_u64_u32 v[6:7], null, 0xcd9e8d57, v9, 0
	v_xor3_b32 v5, v35, v5, v15
	s_delay_alu instid0(VALU_DEP_2) | instskip(NEXT) | instid1(VALU_DEP_2)
	;; [unrolled: 6-line block ×6, first 2 shown]
	v_xor3_b32 v4, v6, v7, v18
	v_mov_b32_e32 v6, v10
	v_cmpx_lt_i32_e32 1, v17
	s_xor_b32 s13, exec_lo, s13
	s_cbranch_execnz .LBB18_18
; %bb.9:                                ;   in Loop: Header=BB18_8 Depth=1
	s_and_not1_saveexec_b32 s13, s13
	s_cbranch_execnz .LBB18_23
.LBB18_10:                              ;   in Loop: Header=BB18_8 Depth=1
	s_or_b32 exec_lo, exec_lo, s13
	s_delay_alu instid0(SALU_CYCLE_1)
	s_mov_b32 s13, exec_lo
	v_cmpx_gt_i64_e64 s[4:5], v[13:14]
	s_cbranch_execz .LBB18_12
.LBB18_11:                              ;   in Loop: Header=BB18_8 Depth=1
	v_cvt_f32_u32_e32 v0, v0
	s_delay_alu instid0(VALU_DEP_1) | instskip(NEXT) | instid1(VALU_DEP_1)
	v_fmaak_f32 v0, 0x2f800000, v0, 0x2f800000
	v_cmp_gt_f32_e32 vcc_lo, 0x800000, v0
	v_cndmask_b32_e64 v7, 1.0, 0x4f800000, vcc_lo
	s_delay_alu instid0(VALU_DEP_1) | instskip(NEXT) | instid1(VALU_DEP_1)
	v_mul_f32_e32 v0, v0, v7
	v_log_f32_e32 v0, v0
	s_waitcnt_depctr 0xfff
	v_mul_f32_e32 v7, 0x3f317217, v0
	s_delay_alu instid0(VALU_DEP_1) | instskip(NEXT) | instid1(VALU_DEP_1)
	v_fma_f32 v8, 0x3f317217, v0, -v7
	v_fmac_f32_e32 v8, 0x3377d1cf, v0
	s_delay_alu instid0(VALU_DEP_1) | instskip(SKIP_2) | instid1(VALU_DEP_3)
	v_add_f32_e32 v7, v7, v8
	v_cndmask_b32_e64 v8, 0, 0x41b17218, vcc_lo
	v_cmp_gt_f32_e64 vcc_lo, 0x7f800000, |v0|
	v_cndmask_b32_e32 v0, v0, v7, vcc_lo
	s_delay_alu instid0(VALU_DEP_1) | instskip(NEXT) | instid1(VALU_DEP_1)
	v_sub_f32_e32 v0, v0, v8
	v_div_scale_f32 v7, null, v43, v43, v0
	s_delay_alu instid0(VALU_DEP_1) | instskip(SKIP_2) | instid1(VALU_DEP_1)
	v_rcp_f32_e32 v8, v7
	s_waitcnt_depctr 0xfff
	v_fma_f32 v9, -v7, v8, 1.0
	v_fmac_f32_e32 v8, v9, v8
	v_div_scale_f32 v9, vcc_lo, v0, v43, v0
	s_delay_alu instid0(VALU_DEP_1) | instskip(NEXT) | instid1(VALU_DEP_1)
	v_mul_f32_e32 v10, v9, v8
	v_fma_f32 v16, -v7, v10, v9
	s_delay_alu instid0(VALU_DEP_1) | instskip(NEXT) | instid1(VALU_DEP_1)
	v_fmac_f32_e32 v10, v16, v8
	v_fma_f32 v7, -v7, v10, v9
	s_delay_alu instid0(VALU_DEP_1) | instskip(SKIP_1) | instid1(VALU_DEP_2)
	v_div_fmas_f32 v7, v7, v8, v10
	v_add_nc_u32_e32 v8, s12, v39
	v_div_fixup_f32 v0, v7, v43, v0
	s_delay_alu instid0(VALU_DEP_2) | instskip(SKIP_1) | instid1(VALU_DEP_3)
	v_ashrrev_i32_e32 v9, 31, v8
	v_add_co_u32 v7, vcc_lo, s6, v8
	v_ceil_f32_e32 v0, v0
	s_delay_alu instid0(VALU_DEP_3) | instskip(NEXT) | instid1(VALU_DEP_2)
	v_add_co_ci_u32_e32 v8, vcc_lo, s7, v9, vcc_lo
	v_cvt_i32_f32_e32 v0, v0
	global_store_b16 v[7:8], v0, off
.LBB18_12:                              ;   in Loop: Header=BB18_8 Depth=1
	s_or_b32 exec_lo, exec_lo, s13
	v_add_co_u32 v7, vcc_lo, s8, v13
	v_add_co_ci_u32_e32 v8, vcc_lo, 0, v14, vcc_lo
	s_mov_b32 s13, exec_lo
	s_delay_alu instid0(VALU_DEP_1)
	v_cmpx_gt_i64_e64 s[4:5], v[7:8]
	s_cbranch_execz .LBB18_14
; %bb.13:                               ;   in Loop: Header=BB18_8 Depth=1
	v_cvt_f32_u32_e32 v0, v1
	s_delay_alu instid0(VALU_DEP_1) | instskip(NEXT) | instid1(VALU_DEP_1)
	v_fmaak_f32 v0, 0x2f800000, v0, 0x2f800000
	v_cmp_gt_f32_e32 vcc_lo, 0x800000, v0
	v_cndmask_b32_e64 v1, 1.0, 0x4f800000, vcc_lo
	s_delay_alu instid0(VALU_DEP_1) | instskip(NEXT) | instid1(VALU_DEP_1)
	v_mul_f32_e32 v0, v0, v1
	v_log_f32_e32 v0, v0
	s_waitcnt_depctr 0xfff
	v_mul_f32_e32 v1, 0x3f317217, v0
	s_delay_alu instid0(VALU_DEP_1) | instskip(NEXT) | instid1(VALU_DEP_1)
	v_fma_f32 v7, 0x3f317217, v0, -v1
	v_fmac_f32_e32 v7, 0x3377d1cf, v0
	s_delay_alu instid0(VALU_DEP_1) | instskip(SKIP_2) | instid1(VALU_DEP_3)
	v_add_f32_e32 v1, v1, v7
	v_cndmask_b32_e64 v7, 0, 0x41b17218, vcc_lo
	v_cmp_gt_f32_e64 vcc_lo, 0x7f800000, |v0|
	v_cndmask_b32_e32 v0, v0, v1, vcc_lo
	s_delay_alu instid0(VALU_DEP_1) | instskip(NEXT) | instid1(VALU_DEP_1)
	v_sub_f32_e32 v0, v0, v7
	v_div_scale_f32 v1, null, v43, v43, v0
	s_delay_alu instid0(VALU_DEP_1) | instskip(SKIP_2) | instid1(VALU_DEP_1)
	v_rcp_f32_e32 v7, v1
	s_waitcnt_depctr 0xfff
	v_fma_f32 v8, -v1, v7, 1.0
	v_fmac_f32_e32 v7, v8, v7
	v_div_scale_f32 v8, vcc_lo, v0, v43, v0
	s_delay_alu instid0(VALU_DEP_1) | instskip(NEXT) | instid1(VALU_DEP_1)
	v_mul_f32_e32 v9, v8, v7
	v_fma_f32 v10, -v1, v9, v8
	s_delay_alu instid0(VALU_DEP_1) | instskip(NEXT) | instid1(VALU_DEP_1)
	v_fmac_f32_e32 v9, v10, v7
	v_fma_f32 v1, -v1, v9, v8
	s_delay_alu instid0(VALU_DEP_1) | instskip(SKIP_1) | instid1(VALU_DEP_2)
	v_div_fmas_f32 v1, v1, v7, v9
	v_add_nc_u32_e32 v7, s12, v42
	v_div_fixup_f32 v0, v1, v43, v0
	s_delay_alu instid0(VALU_DEP_2) | instskip(NEXT) | instid1(VALU_DEP_2)
	v_ashrrev_i32_e32 v1, 31, v7
	v_ceil_f32_e32 v8, v0
	v_add_co_u32 v0, vcc_lo, s6, v7
	s_delay_alu instid0(VALU_DEP_3) | instskip(NEXT) | instid1(VALU_DEP_3)
	v_add_co_ci_u32_e32 v1, vcc_lo, s7, v1, vcc_lo
	v_cvt_i32_f32_e32 v7, v8
	global_store_b16 v[0:1], v7, off
.LBB18_14:                              ;   in Loop: Header=BB18_8 Depth=1
	s_or_b32 exec_lo, exec_lo, s13
	v_add_co_u32 v0, vcc_lo, s1, v13
	v_add_co_ci_u32_e32 v1, vcc_lo, 0, v14, vcc_lo
	s_mov_b32 s13, exec_lo
	s_delay_alu instid0(VALU_DEP_1)
	v_cmpx_gt_i64_e64 s[4:5], v[0:1]
	s_cbranch_execz .LBB18_16
; %bb.15:                               ;   in Loop: Header=BB18_8 Depth=1
	v_cvt_f32_u32_e32 v0, v2
	s_delay_alu instid0(VALU_DEP_1) | instskip(NEXT) | instid1(VALU_DEP_1)
	v_fmaak_f32 v0, 0x2f800000, v0, 0x2f800000
	v_cmp_gt_f32_e32 vcc_lo, 0x800000, v0
	v_cndmask_b32_e64 v1, 1.0, 0x4f800000, vcc_lo
	s_delay_alu instid0(VALU_DEP_1) | instskip(NEXT) | instid1(VALU_DEP_1)
	v_mul_f32_e32 v0, v0, v1
	v_log_f32_e32 v0, v0
	s_waitcnt_depctr 0xfff
	v_mul_f32_e32 v1, 0x3f317217, v0
	s_delay_alu instid0(VALU_DEP_1) | instskip(NEXT) | instid1(VALU_DEP_1)
	v_fma_f32 v2, 0x3f317217, v0, -v1
	v_fmac_f32_e32 v2, 0x3377d1cf, v0
	s_delay_alu instid0(VALU_DEP_1) | instskip(SKIP_2) | instid1(VALU_DEP_3)
	v_add_f32_e32 v1, v1, v2
	v_cndmask_b32_e64 v2, 0, 0x41b17218, vcc_lo
	v_cmp_gt_f32_e64 vcc_lo, 0x7f800000, |v0|
	v_cndmask_b32_e32 v0, v0, v1, vcc_lo
	s_delay_alu instid0(VALU_DEP_1) | instskip(NEXT) | instid1(VALU_DEP_1)
	v_sub_f32_e32 v0, v0, v2
	v_div_scale_f32 v1, null, v43, v43, v0
	s_delay_alu instid0(VALU_DEP_1) | instskip(SKIP_2) | instid1(VALU_DEP_1)
	v_rcp_f32_e32 v2, v1
	s_waitcnt_depctr 0xfff
	v_fma_f32 v7, -v1, v2, 1.0
	v_fmac_f32_e32 v2, v7, v2
	v_div_scale_f32 v7, vcc_lo, v0, v43, v0
	s_delay_alu instid0(VALU_DEP_1) | instskip(NEXT) | instid1(VALU_DEP_1)
	v_mul_f32_e32 v8, v7, v2
	v_fma_f32 v9, -v1, v8, v7
	s_delay_alu instid0(VALU_DEP_1) | instskip(NEXT) | instid1(VALU_DEP_1)
	v_fmac_f32_e32 v8, v9, v2
	v_fma_f32 v1, -v1, v8, v7
	s_delay_alu instid0(VALU_DEP_1) | instskip(SKIP_1) | instid1(VALU_DEP_2)
	v_div_fmas_f32 v1, v1, v2, v8
	v_add_nc_u32_e32 v2, s12, v41
	v_div_fixup_f32 v0, v1, v43, v0
	s_delay_alu instid0(VALU_DEP_2) | instskip(NEXT) | instid1(VALU_DEP_2)
	v_ashrrev_i32_e32 v1, 31, v2
	v_ceil_f32_e32 v7, v0
	v_add_co_u32 v0, vcc_lo, s6, v2
	s_delay_alu instid0(VALU_DEP_3) | instskip(NEXT) | instid1(VALU_DEP_3)
	v_add_co_ci_u32_e32 v1, vcc_lo, s7, v1, vcc_lo
	v_cvt_i32_f32_e32 v2, v7
	global_store_b16 v[0:1], v2, off
.LBB18_16:                              ;   in Loop: Header=BB18_8 Depth=1
	s_or_b32 exec_lo, exec_lo, s13
	v_add_co_u32 v0, vcc_lo, s10, v13
	v_add_co_ci_u32_e32 v1, vcc_lo, 0, v14, vcc_lo
	s_mov_b32 s13, exec_lo
	s_delay_alu instid0(VALU_DEP_1)
	v_cmpx_gt_i64_e64 s[4:5], v[0:1]
	s_cbranch_execz .LBB18_7
; %bb.17:                               ;   in Loop: Header=BB18_8 Depth=1
	v_cvt_f32_u32_e32 v0, v3
	s_delay_alu instid0(VALU_DEP_1) | instskip(NEXT) | instid1(VALU_DEP_1)
	v_fmaak_f32 v0, 0x2f800000, v0, 0x2f800000
	v_cmp_gt_f32_e32 vcc_lo, 0x800000, v0
	v_cndmask_b32_e64 v1, 1.0, 0x4f800000, vcc_lo
	s_delay_alu instid0(VALU_DEP_1) | instskip(NEXT) | instid1(VALU_DEP_1)
	v_mul_f32_e32 v0, v0, v1
	v_log_f32_e32 v0, v0
	s_waitcnt_depctr 0xfff
	v_mul_f32_e32 v1, 0x3f317217, v0
	s_delay_alu instid0(VALU_DEP_1) | instskip(NEXT) | instid1(VALU_DEP_1)
	v_fma_f32 v2, 0x3f317217, v0, -v1
	v_fmac_f32_e32 v2, 0x3377d1cf, v0
	s_delay_alu instid0(VALU_DEP_1) | instskip(SKIP_2) | instid1(VALU_DEP_3)
	v_add_f32_e32 v1, v1, v2
	v_cndmask_b32_e64 v2, 0, 0x41b17218, vcc_lo
	v_cmp_gt_f32_e64 vcc_lo, 0x7f800000, |v0|
	v_cndmask_b32_e32 v0, v0, v1, vcc_lo
	s_delay_alu instid0(VALU_DEP_1) | instskip(NEXT) | instid1(VALU_DEP_1)
	v_sub_f32_e32 v0, v0, v2
	v_div_scale_f32 v1, null, v43, v43, v0
	s_delay_alu instid0(VALU_DEP_1) | instskip(SKIP_2) | instid1(VALU_DEP_1)
	v_rcp_f32_e32 v2, v1
	s_waitcnt_depctr 0xfff
	v_fma_f32 v3, -v1, v2, 1.0
	v_fmac_f32_e32 v2, v3, v2
	v_div_scale_f32 v3, vcc_lo, v0, v43, v0
	s_delay_alu instid0(VALU_DEP_1) | instskip(NEXT) | instid1(VALU_DEP_1)
	v_mul_f32_e32 v7, v3, v2
	v_fma_f32 v8, -v1, v7, v3
	s_delay_alu instid0(VALU_DEP_1) | instskip(NEXT) | instid1(VALU_DEP_1)
	v_fmac_f32_e32 v7, v8, v2
	v_fma_f32 v1, -v1, v7, v3
	s_delay_alu instid0(VALU_DEP_1) | instskip(SKIP_1) | instid1(VALU_DEP_2)
	v_div_fmas_f32 v1, v1, v2, v7
	v_add_nc_u32_e32 v2, s12, v40
	v_div_fixup_f32 v0, v1, v43, v0
	s_delay_alu instid0(VALU_DEP_2) | instskip(NEXT) | instid1(VALU_DEP_2)
	v_ashrrev_i32_e32 v1, 31, v2
	v_ceil_f32_e32 v3, v0
	v_add_co_u32 v0, vcc_lo, s6, v2
	s_delay_alu instid0(VALU_DEP_3) | instskip(NEXT) | instid1(VALU_DEP_3)
	v_add_co_ci_u32_e32 v1, vcc_lo, s7, v1, vcc_lo
	v_cvt_i32_f32_e32 v2, v3
	global_store_b16 v[0:1], v2, off
	s_branch .LBB18_7
.LBB18_18:                              ;   in Loop: Header=BB18_8 Depth=1
	s_mov_b32 s14, exec_lo
	v_cmpx_lt_i32_e32 2, v17
	s_xor_b32 s14, exec_lo, s14
; %bb.19:                               ;   in Loop: Header=BB18_8 Depth=1
	v_dual_mov_b32 v7, v3 :: v_dual_mov_b32 v8, v4
	v_mov_b32_e32 v9, v5
	s_delay_alu instid0(VALU_DEP_2) | instskip(NEXT) | instid1(VALU_DEP_2)
	v_dual_mov_b32 v0, v7 :: v_dual_mov_b32 v1, v8
	v_dual_mov_b32 v2, v9 :: v_dual_mov_b32 v3, v10
; %bb.20:                               ;   in Loop: Header=BB18_8 Depth=1
	s_and_not1_saveexec_b32 s14, s14
; %bb.21:                               ;   in Loop: Header=BB18_8 Depth=1
	s_delay_alu instid0(VALU_DEP_1)
	v_dual_mov_b32 v0, v2 :: v_dual_mov_b32 v1, v3
	v_dual_mov_b32 v2, v4 :: v_dual_mov_b32 v3, v5
; %bb.22:                               ;   in Loop: Header=BB18_8 Depth=1
	s_or_b32 exec_lo, exec_lo, s14
	s_and_not1_saveexec_b32 s13, s13
	s_cbranch_execz .LBB18_10
.LBB18_23:                              ;   in Loop: Header=BB18_8 Depth=1
	s_mov_b32 s14, exec_lo
	v_cmpx_eq_u32_e32 1, v17
; %bb.24:                               ;   in Loop: Header=BB18_8 Depth=1
	v_dual_mov_b32 v0, v1 :: v_dual_mov_b32 v1, v2
	v_dual_mov_b32 v2, v3 :: v_dual_mov_b32 v3, v4
; %bb.25:                               ;   in Loop: Header=BB18_8 Depth=1
	s_or_b32 exec_lo, exec_lo, s14
	s_delay_alu instid0(SALU_CYCLE_1) | instskip(NEXT) | instid1(SALU_CYCLE_1)
	s_or_b32 exec_lo, exec_lo, s13
	s_mov_b32 s13, exec_lo
	v_cmpx_gt_i64_e64 s[4:5], v[13:14]
	s_cbranch_execnz .LBB18_11
	s_branch .LBB18_12
.LBB18_26:
	s_endpgm
.LBB18_27:
                                        ; implicit-def: $sgpr2_sgpr3
	s_branch .LBB18_4
	.section	.rodata,"a",@progbits
	.p2align	6, 0x0
	.amdhsa_kernel _ZN2at6native12_GLOBAL__N_143distribution_elementwise_grid_stride_kernelIfLi4EZNS0_9templates4cuda21uniform_and_transformIsfPNS_17CUDAGeneratorImplEZZZNS4_16geometric_kernelIS7_EEvRNS_18TensorIteratorBaseEdT_ENKUlvE_clEvENKUlvE3_clEvEUlfE_EEvSA_T1_T2_EUlP25hiprandStatePhilox4_32_10E0_ZNS1_27distribution_nullary_kernelIsf15HIP_vector_typeIfLj4EES7_SJ_SE_EEvSA_SG_RKT3_T4_EUlifE_EEvlNS_15PhiloxCudaStateESF_SG_
		.amdhsa_group_segment_fixed_size 0
		.amdhsa_private_segment_fixed_size 0
		.amdhsa_kernarg_size 328
		.amdhsa_user_sgpr_count 15
		.amdhsa_user_sgpr_dispatch_ptr 0
		.amdhsa_user_sgpr_queue_ptr 0
		.amdhsa_user_sgpr_kernarg_segment_ptr 1
		.amdhsa_user_sgpr_dispatch_id 0
		.amdhsa_user_sgpr_private_segment_size 0
		.amdhsa_wavefront_size32 1
		.amdhsa_uses_dynamic_stack 0
		.amdhsa_enable_private_segment 0
		.amdhsa_system_sgpr_workgroup_id_x 1
		.amdhsa_system_sgpr_workgroup_id_y 0
		.amdhsa_system_sgpr_workgroup_id_z 0
		.amdhsa_system_sgpr_workgroup_info 0
		.amdhsa_system_vgpr_workitem_id 0
		.amdhsa_next_free_vgpr 45
		.amdhsa_next_free_sgpr 23
		.amdhsa_reserve_vcc 1
		.amdhsa_float_round_mode_32 0
		.amdhsa_float_round_mode_16_64 0
		.amdhsa_float_denorm_mode_32 3
		.amdhsa_float_denorm_mode_16_64 3
		.amdhsa_dx10_clamp 1
		.amdhsa_ieee_mode 1
		.amdhsa_fp16_overflow 0
		.amdhsa_workgroup_processor_mode 1
		.amdhsa_memory_ordered 1
		.amdhsa_forward_progress 0
		.amdhsa_shared_vgpr_count 0
		.amdhsa_exception_fp_ieee_invalid_op 0
		.amdhsa_exception_fp_denorm_src 0
		.amdhsa_exception_fp_ieee_div_zero 0
		.amdhsa_exception_fp_ieee_overflow 0
		.amdhsa_exception_fp_ieee_underflow 0
		.amdhsa_exception_fp_ieee_inexact 0
		.amdhsa_exception_int_div_zero 0
	.end_amdhsa_kernel
	.section	.text._ZN2at6native12_GLOBAL__N_143distribution_elementwise_grid_stride_kernelIfLi4EZNS0_9templates4cuda21uniform_and_transformIsfPNS_17CUDAGeneratorImplEZZZNS4_16geometric_kernelIS7_EEvRNS_18TensorIteratorBaseEdT_ENKUlvE_clEvENKUlvE3_clEvEUlfE_EEvSA_T1_T2_EUlP25hiprandStatePhilox4_32_10E0_ZNS1_27distribution_nullary_kernelIsf15HIP_vector_typeIfLj4EES7_SJ_SE_EEvSA_SG_RKT3_T4_EUlifE_EEvlNS_15PhiloxCudaStateESF_SG_,"axG",@progbits,_ZN2at6native12_GLOBAL__N_143distribution_elementwise_grid_stride_kernelIfLi4EZNS0_9templates4cuda21uniform_and_transformIsfPNS_17CUDAGeneratorImplEZZZNS4_16geometric_kernelIS7_EEvRNS_18TensorIteratorBaseEdT_ENKUlvE_clEvENKUlvE3_clEvEUlfE_EEvSA_T1_T2_EUlP25hiprandStatePhilox4_32_10E0_ZNS1_27distribution_nullary_kernelIsf15HIP_vector_typeIfLj4EES7_SJ_SE_EEvSA_SG_RKT3_T4_EUlifE_EEvlNS_15PhiloxCudaStateESF_SG_,comdat
.Lfunc_end18:
	.size	_ZN2at6native12_GLOBAL__N_143distribution_elementwise_grid_stride_kernelIfLi4EZNS0_9templates4cuda21uniform_and_transformIsfPNS_17CUDAGeneratorImplEZZZNS4_16geometric_kernelIS7_EEvRNS_18TensorIteratorBaseEdT_ENKUlvE_clEvENKUlvE3_clEvEUlfE_EEvSA_T1_T2_EUlP25hiprandStatePhilox4_32_10E0_ZNS1_27distribution_nullary_kernelIsf15HIP_vector_typeIfLj4EES7_SJ_SE_EEvSA_SG_RKT3_T4_EUlifE_EEvlNS_15PhiloxCudaStateESF_SG_, .Lfunc_end18-_ZN2at6native12_GLOBAL__N_143distribution_elementwise_grid_stride_kernelIfLi4EZNS0_9templates4cuda21uniform_and_transformIsfPNS_17CUDAGeneratorImplEZZZNS4_16geometric_kernelIS7_EEvRNS_18TensorIteratorBaseEdT_ENKUlvE_clEvENKUlvE3_clEvEUlfE_EEvSA_T1_T2_EUlP25hiprandStatePhilox4_32_10E0_ZNS1_27distribution_nullary_kernelIsf15HIP_vector_typeIfLj4EES7_SJ_SE_EEvSA_SG_RKT3_T4_EUlifE_EEvlNS_15PhiloxCudaStateESF_SG_
                                        ; -- End function
	.section	.AMDGPU.csdata,"",@progbits
; Kernel info:
; codeLenInByte = 4416
; NumSgprs: 25
; NumVgprs: 45
; ScratchSize: 0
; MemoryBound: 0
; FloatMode: 240
; IeeeMode: 1
; LDSByteSize: 0 bytes/workgroup (compile time only)
; SGPRBlocks: 3
; VGPRBlocks: 5
; NumSGPRsForWavesPerEU: 25
; NumVGPRsForWavesPerEU: 45
; Occupancy: 16
; WaveLimiterHint : 0
; COMPUTE_PGM_RSRC2:SCRATCH_EN: 0
; COMPUTE_PGM_RSRC2:USER_SGPR: 15
; COMPUTE_PGM_RSRC2:TRAP_HANDLER: 0
; COMPUTE_PGM_RSRC2:TGID_X_EN: 1
; COMPUTE_PGM_RSRC2:TGID_Y_EN: 0
; COMPUTE_PGM_RSRC2:TGID_Z_EN: 0
; COMPUTE_PGM_RSRC2:TIDIG_COMP_CNT: 0
	.section	.text._ZN2at6native12_GLOBAL__N_143distribution_elementwise_grid_stride_kernelIfLi4EZNS0_9templates4cuda21uniform_and_transformIsfPNS_17CUDAGeneratorImplEZZZNS4_16geometric_kernelIS7_EEvRNS_18TensorIteratorBaseEdT_ENKUlvE_clEvENKUlvE3_clEvEUlfE_EEvSA_T1_T2_EUlP25hiprandStatePhilox4_32_10E0_ZNS1_27distribution_nullary_kernelIsf15HIP_vector_typeIfLj4EES7_SJ_SE_EEvSA_SG_RKT3_T4_EUlifE0_EEvlNS_15PhiloxCudaStateESF_SG_,"axG",@progbits,_ZN2at6native12_GLOBAL__N_143distribution_elementwise_grid_stride_kernelIfLi4EZNS0_9templates4cuda21uniform_and_transformIsfPNS_17CUDAGeneratorImplEZZZNS4_16geometric_kernelIS7_EEvRNS_18TensorIteratorBaseEdT_ENKUlvE_clEvENKUlvE3_clEvEUlfE_EEvSA_T1_T2_EUlP25hiprandStatePhilox4_32_10E0_ZNS1_27distribution_nullary_kernelIsf15HIP_vector_typeIfLj4EES7_SJ_SE_EEvSA_SG_RKT3_T4_EUlifE0_EEvlNS_15PhiloxCudaStateESF_SG_,comdat
	.globl	_ZN2at6native12_GLOBAL__N_143distribution_elementwise_grid_stride_kernelIfLi4EZNS0_9templates4cuda21uniform_and_transformIsfPNS_17CUDAGeneratorImplEZZZNS4_16geometric_kernelIS7_EEvRNS_18TensorIteratorBaseEdT_ENKUlvE_clEvENKUlvE3_clEvEUlfE_EEvSA_T1_T2_EUlP25hiprandStatePhilox4_32_10E0_ZNS1_27distribution_nullary_kernelIsf15HIP_vector_typeIfLj4EES7_SJ_SE_EEvSA_SG_RKT3_T4_EUlifE0_EEvlNS_15PhiloxCudaStateESF_SG_ ; -- Begin function _ZN2at6native12_GLOBAL__N_143distribution_elementwise_grid_stride_kernelIfLi4EZNS0_9templates4cuda21uniform_and_transformIsfPNS_17CUDAGeneratorImplEZZZNS4_16geometric_kernelIS7_EEvRNS_18TensorIteratorBaseEdT_ENKUlvE_clEvENKUlvE3_clEvEUlfE_EEvSA_T1_T2_EUlP25hiprandStatePhilox4_32_10E0_ZNS1_27distribution_nullary_kernelIsf15HIP_vector_typeIfLj4EES7_SJ_SE_EEvSA_SG_RKT3_T4_EUlifE0_EEvlNS_15PhiloxCudaStateESF_SG_
	.p2align	8
	.type	_ZN2at6native12_GLOBAL__N_143distribution_elementwise_grid_stride_kernelIfLi4EZNS0_9templates4cuda21uniform_and_transformIsfPNS_17CUDAGeneratorImplEZZZNS4_16geometric_kernelIS7_EEvRNS_18TensorIteratorBaseEdT_ENKUlvE_clEvENKUlvE3_clEvEUlfE_EEvSA_T1_T2_EUlP25hiprandStatePhilox4_32_10E0_ZNS1_27distribution_nullary_kernelIsf15HIP_vector_typeIfLj4EES7_SJ_SE_EEvSA_SG_RKT3_T4_EUlifE0_EEvlNS_15PhiloxCudaStateESF_SG_,@function
_ZN2at6native12_GLOBAL__N_143distribution_elementwise_grid_stride_kernelIfLi4EZNS0_9templates4cuda21uniform_and_transformIsfPNS_17CUDAGeneratorImplEZZZNS4_16geometric_kernelIS7_EEvRNS_18TensorIteratorBaseEdT_ENKUlvE_clEvENKUlvE3_clEvEUlfE_EEvSA_T1_T2_EUlP25hiprandStatePhilox4_32_10E0_ZNS1_27distribution_nullary_kernelIsf15HIP_vector_typeIfLj4EES7_SJ_SE_EEvSA_SG_RKT3_T4_EUlifE0_EEvlNS_15PhiloxCudaStateESF_SG_: ; @_ZN2at6native12_GLOBAL__N_143distribution_elementwise_grid_stride_kernelIfLi4EZNS0_9templates4cuda21uniform_and_transformIsfPNS_17CUDAGeneratorImplEZZZNS4_16geometric_kernelIS7_EEvRNS_18TensorIteratorBaseEdT_ENKUlvE_clEvENKUlvE3_clEvEUlfE_EEvSA_T1_T2_EUlP25hiprandStatePhilox4_32_10E0_ZNS1_27distribution_nullary_kernelIsf15HIP_vector_typeIfLj4EES7_SJ_SE_EEvSA_SG_RKT3_T4_EUlifE0_EEvlNS_15PhiloxCudaStateESF_SG_
; %bb.0:
	s_clause 0x2
	s_load_b64 s[4:5], s[0:1], 0x10
	s_load_b128 s[16:19], s[0:1], 0x0
	s_load_b32 s2, s[0:1], 0x20
	s_waitcnt lgkmcnt(0)
	v_dual_mov_b32 v2, s4 :: v_dual_mov_b32 v3, s5
	v_dual_mov_b32 v11, s18 :: v_dual_mov_b32 v12, s19
	s_bitcmp0_b32 s2, 0
	s_mov_b32 s2, 0
	s_cbranch_scc1 .LBB19_2
; %bb.1:
	v_dual_mov_b32 v1, s4 :: v_dual_mov_b32 v2, s5
	v_dual_mov_b32 v4, s18 :: v_dual_mov_b32 v5, s19
	s_load_b64 s[4:5], s[0:1], 0x18
	flat_load_b64 v[2:3], v[1:2]
	flat_load_b64 v[11:12], v[4:5]
	s_waitcnt vmcnt(1) lgkmcnt(0)
	v_add_co_u32 v2, vcc_lo, v2, s4
	v_add_co_ci_u32_e32 v3, vcc_lo, s5, v3, vcc_lo
.LBB19_2:
	s_clause 0x1
	s_load_b32 s3, s[0:1], 0x154
	s_load_b32 s4, s[0:1], 0x148
	s_waitcnt lgkmcnt(0)
	s_and_b32 s5, s3, 0xffff
	s_add_u32 s6, s16, -1
	s_mul_i32 s24, s4, s5
	s_addc_u32 s3, s17, -1
	s_lshl_b32 s25, s24, 2
	s_cmp_lg_u64 s[2:3], 0
	s_cbranch_scc0 .LBB19_79
; %bb.3:
	v_cvt_f32_ubyte0_e32 v1, 0
	v_cvt_f32_u32_e32 v4, s25
	s_sub_u32 s8, 0, s25
	s_subb_u32 s9, 0, 0
	s_delay_alu instid0(VALU_DEP_1) | instskip(NEXT) | instid1(VALU_DEP_1)
	v_fmamk_f32 v1, v1, 0x4f800000, v4
	v_rcp_f32_e32 v1, v1
	s_waitcnt_depctr 0xfff
	v_mul_f32_e32 v1, 0x5f7ffffc, v1
	s_delay_alu instid0(VALU_DEP_1) | instskip(NEXT) | instid1(VALU_DEP_1)
	v_mul_f32_e32 v4, 0x2f800000, v1
	v_trunc_f32_e32 v4, v4
	s_delay_alu instid0(VALU_DEP_1) | instskip(SKIP_1) | instid1(VALU_DEP_2)
	v_fmamk_f32 v1, v4, 0xcf800000, v1
	v_cvt_u32_f32_e32 v4, v4
	v_cvt_u32_f32_e32 v1, v1
	s_delay_alu instid0(VALU_DEP_2) | instskip(NEXT) | instid1(VALU_DEP_2)
	v_readfirstlane_b32 s2, v4
	v_readfirstlane_b32 s7, v1
	s_delay_alu instid0(VALU_DEP_2) | instskip(NEXT) | instid1(VALU_DEP_1)
	s_mul_i32 s10, s8, s2
	s_mul_hi_u32 s12, s8, s7
	s_mul_i32 s11, s9, s7
	s_add_i32 s10, s12, s10
	s_mul_i32 s13, s8, s7
	s_add_i32 s10, s10, s11
	s_mul_hi_u32 s12, s7, s13
	s_mul_hi_u32 s14, s2, s13
	s_mul_i32 s11, s2, s13
	s_mul_hi_u32 s13, s7, s10
	s_mul_i32 s7, s7, s10
	s_mul_hi_u32 s18, s2, s10
	s_add_u32 s7, s12, s7
	s_addc_u32 s12, 0, s13
	s_add_u32 s7, s7, s11
	s_mul_i32 s10, s2, s10
	s_addc_u32 s7, s12, s14
	s_addc_u32 s11, s18, 0
	s_add_u32 s7, s7, s10
	s_addc_u32 s10, 0, s11
	v_add_co_u32 v1, s7, v1, s7
	s_delay_alu instid0(VALU_DEP_1) | instskip(SKIP_1) | instid1(VALU_DEP_1)
	s_cmp_lg_u32 s7, 0
	s_addc_u32 s2, s2, s10
	v_readfirstlane_b32 s7, v1
	s_mul_i32 s10, s8, s2
	s_delay_alu instid0(VALU_DEP_1)
	s_mul_hi_u32 s11, s8, s7
	s_mul_i32 s9, s9, s7
	s_add_i32 s10, s11, s10
	s_mul_i32 s8, s8, s7
	s_add_i32 s10, s10, s9
	s_mul_hi_u32 s11, s2, s8
	s_mul_i32 s12, s2, s8
	s_mul_hi_u32 s8, s7, s8
	s_mul_hi_u32 s13, s7, s10
	s_mul_i32 s7, s7, s10
	s_mul_hi_u32 s9, s2, s10
	s_add_u32 s7, s8, s7
	s_addc_u32 s8, 0, s13
	s_add_u32 s7, s7, s12
	s_mul_i32 s10, s2, s10
	s_addc_u32 s7, s8, s11
	s_addc_u32 s8, s9, 0
	s_add_u32 s7, s7, s10
	s_addc_u32 s8, 0, s8
	v_add_co_u32 v1, s7, v1, s7
	s_delay_alu instid0(VALU_DEP_1) | instskip(SKIP_2) | instid1(VALU_DEP_1)
	s_cmp_lg_u32 s7, 0
	s_addc_u32 s7, s2, s8
	s_ashr_i32 s8, s3, 31
	v_readfirstlane_b32 s10, v1
	s_add_u32 s2, s6, s8
	s_mov_b32 s9, s8
	s_addc_u32 s3, s3, s8
	s_delay_alu instid0(SALU_CYCLE_1) | instskip(NEXT) | instid1(SALU_CYCLE_1)
	s_xor_b64 s[2:3], s[2:3], s[8:9]
	s_mul_i32 s12, s2, s7
	s_mul_hi_u32 s13, s2, s10
	s_mul_hi_u32 s11, s2, s7
	;; [unrolled: 1-line block ×3, first 2 shown]
	s_mul_i32 s10, s3, s10
	s_add_u32 s12, s13, s12
	s_addc_u32 s11, 0, s11
	s_mul_hi_u32 s14, s3, s7
	s_add_u32 s10, s12, s10
	s_mul_i32 s7, s3, s7
	s_addc_u32 s10, s11, s18
	s_addc_u32 s11, s14, 0
	s_add_u32 s7, s10, s7
	s_addc_u32 s10, 0, s11
	s_mul_i32 s12, s25, s7
	s_add_u32 s11, s7, 1
	v_sub_co_u32 v1, s2, s2, s12
	s_mul_hi_u32 s12, s25, s7
	s_addc_u32 s13, s10, 0
	s_mul_i32 s14, s25, s10
	s_delay_alu instid0(VALU_DEP_1)
	v_sub_co_u32 v4, s18, v1, s25
	s_add_u32 s19, s7, 2
	s_addc_u32 s20, s10, 0
	s_add_i32 s12, s12, s14
	s_cmp_lg_u32 s2, 0
	v_readfirstlane_b32 s2, v4
	s_subb_u32 s3, s3, s12
	s_cmp_lg_u32 s18, 0
	s_subb_u32 s12, s3, 0
	s_delay_alu instid0(VALU_DEP_1) | instskip(SKIP_4) | instid1(SALU_CYCLE_1)
	s_cmp_ge_u32 s2, s25
	s_cselect_b32 s2, -1, 0
	s_cmp_eq_u32 s12, 0
	v_readfirstlane_b32 s12, v1
	s_cselect_b32 s2, s2, -1
	s_cmp_lg_u32 s2, 0
	s_cselect_b32 s2, s19, s11
	s_cselect_b32 s11, s20, s13
	s_cmp_ge_u32 s12, s25
	s_cselect_b32 s12, -1, 0
	s_cmp_eq_u32 s3, 0
	s_cselect_b32 s3, s12, -1
	s_delay_alu instid0(SALU_CYCLE_1) | instskip(SKIP_2) | instid1(SALU_CYCLE_1)
	s_cmp_lg_u32 s3, 0
	s_cselect_b32 s3, s11, s10
	s_cselect_b32 s2, s2, s7
	s_xor_b64 s[2:3], s[2:3], s[8:9]
	s_delay_alu instid0(SALU_CYCLE_1)
	s_sub_u32 s2, s2, s8
	s_subb_u32 s3, s3, s8
	s_cbranch_execnz .LBB19_5
.LBB19_4:
	v_cvt_f32_u32_e32 v1, s25
	s_sub_i32 s3, 0, s25
	s_delay_alu instid0(VALU_DEP_1) | instskip(SKIP_2) | instid1(VALU_DEP_1)
	v_rcp_iflag_f32_e32 v1, v1
	s_waitcnt_depctr 0xfff
	v_mul_f32_e32 v1, 0x4f7ffffe, v1
	v_cvt_u32_f32_e32 v1, v1
	s_delay_alu instid0(VALU_DEP_1) | instskip(NEXT) | instid1(VALU_DEP_1)
	v_readfirstlane_b32 s2, v1
	s_mul_i32 s3, s3, s2
	s_delay_alu instid0(SALU_CYCLE_1) | instskip(NEXT) | instid1(SALU_CYCLE_1)
	s_mul_hi_u32 s3, s2, s3
	s_add_i32 s2, s2, s3
	s_delay_alu instid0(SALU_CYCLE_1) | instskip(NEXT) | instid1(SALU_CYCLE_1)
	s_mul_hi_u32 s2, s6, s2
	s_mul_i32 s3, s2, s25
	s_delay_alu instid0(SALU_CYCLE_1)
	s_sub_i32 s3, s6, s3
	s_add_i32 s6, s2, 1
	s_sub_i32 s7, s3, s25
	s_cmp_ge_u32 s3, s25
	s_cselect_b32 s2, s6, s2
	s_cselect_b32 s3, s7, s3
	s_add_i32 s6, s2, 1
	s_cmp_ge_u32 s3, s25
	s_mov_b32 s3, 0
	s_cselect_b32 s2, s6, s2
.LBB19_5:
	v_mov_b32_e32 v1, 0
	s_add_u32 s2, s2, 1
	s_addc_u32 s3, s3, 0
	s_mul_hi_u32 s6, s24, s2
	s_mul_i32 s3, s24, s3
	v_mad_u64_u32 v[13:14], null, s5, s15, v[0:1]
	s_mul_hi_u32 s4, s4, s5
	s_add_i32 s3, s6, s3
	s_mul_i32 s4, s4, s2
	s_mul_i32 s2, s24, s2
	s_add_i32 s3, s3, s4
	s_mov_b32 s4, exec_lo
	s_lshl_b64 s[2:3], s[2:3], 2
	s_delay_alu instid0(SALU_CYCLE_1)
	v_cmpx_gt_i64_e64 s[2:3], v[13:14]
	s_cbranch_execz .LBB19_78
; %bb.6:
	s_load_b128 s[12:15], s[0:1], 0x138
	v_alignbit_b32 v24, v3, v2, 2
	s_waitcnt vmcnt(0)
	v_dual_mov_b32 v38, v12 :: v_dual_add_nc_u32 v19, 0x96a522ad, v12
	v_add_co_u32 v23, null, 0x9e3779b9, v11
	s_load_b256 s[4:11], s[0:1], 0x30
	s_waitcnt lgkmcnt(0)
	s_mov_b32 s11, 0x3e9b6dac
	v_add_co_u32 v26, null, 0x3c6ef372, v11
	v_add_co_u32 v32, null, 0x76cf5d0a, v38
	v_add_co_u32 v22, null, 0xdaa66d2b, v11
	v_add_co_u32 v34, null, 0x32370b8f, v38
	v_add_co_u32 v21, null, 0x1715609d, v11
	v_add_co_u32 v37, null, 0xa9066899, v38
	v_cvt_f32_f64_e32 v9, s[14:15]
	v_add_co_u32 v28, null, 0xb54cda56, v11
	v_add_co_u32 v33, null, 0xdb3d7428, v38
	;; [unrolled: 1-line block ×3, first 2 shown]
	s_add_u32 s18, s0, 48
	v_add_co_u32 v30, null, 0xf1bbcdc8, v11
	s_addc_u32 s19, s1, 0
	s_add_i32 s20, s4, -1
	s_load_b64 s[14:15], s[0:1], 0xf4
	s_cmp_gt_u32 s20, 1
	s_mov_b32 s26, 0
	s_mul_i32 s33, s24, 3
	v_add_nc_u32_e32 v18, 0x8ff34781, v11
	v_sub_f32_e32 v4, 1.0, v9
	s_delay_alu instid0(VALU_DEP_1) | instskip(NEXT) | instid1(VALU_DEP_1)
	v_cvt_f64_f32_e32 v[0:1], v4
	v_frexp_exp_i32_f64_e32 v0, v[0:1]
	v_frexp_mant_f32_e32 v1, v4
	s_delay_alu instid0(VALU_DEP_1) | instskip(NEXT) | instid1(VALU_DEP_3)
	v_cmp_gt_f32_e32 vcc_lo, 0x3f2aaaab, v1
	v_subrev_co_ci_u32_e32 v8, vcc_lo, 0, v0, vcc_lo
	v_add_f32_e32 v0, -1.0, v4
	v_cmp_eq_f32_e32 vcc_lo, 0xff800000, v9
	s_delay_alu instid0(VALU_DEP_3) | instskip(SKIP_1) | instid1(VALU_DEP_4)
	v_sub_nc_u32_e32 v1, 0, v8
	v_cvt_f32_i32_e32 v8, v8
	v_sub_f32_e32 v5, v0, v4
	s_delay_alu instid0(VALU_DEP_3) | instskip(NEXT) | instid1(VALU_DEP_2)
	v_ldexp_f32 v4, v4, v1
	v_add_f32_e32 v5, 1.0, v5
	v_sub_f32_e64 v0, -v9, v0
	s_delay_alu instid0(VALU_DEP_3) | instskip(NEXT) | instid1(VALU_DEP_1)
	v_add_f32_e32 v6, 1.0, v4
	v_dual_add_f32 v0, v0, v5 :: v_dual_add_f32 v5, -1.0, v6
	s_delay_alu instid0(VALU_DEP_1) | instskip(SKIP_1) | instid1(VALU_DEP_3)
	v_ldexp_f32 v0, v0, v1
	v_add_f32_e32 v1, -1.0, v4
	v_sub_f32_e32 v5, v4, v5
	s_delay_alu instid0(VALU_DEP_2) | instskip(NEXT) | instid1(VALU_DEP_2)
	v_add_f32_e32 v7, 1.0, v1
	v_add_f32_e32 v5, v0, v5
	s_delay_alu instid0(VALU_DEP_2) | instskip(NEXT) | instid1(VALU_DEP_1)
	v_sub_f32_e32 v4, v4, v7
	v_add_f32_e32 v0, v0, v4
	s_delay_alu instid0(VALU_DEP_1) | instskip(NEXT) | instid1(VALU_DEP_1)
	v_dual_add_f32 v4, v1, v0 :: v_dual_add_f32 v7, v6, v5
	v_sub_f32_e32 v1, v4, v1
	s_delay_alu instid0(VALU_DEP_2) | instskip(SKIP_1) | instid1(VALU_DEP_1)
	v_rcp_f32_e32 v10, v7
	v_sub_f32_e32 v6, v7, v6
	v_dual_sub_f32 v0, v0, v1 :: v_dual_sub_f32 v5, v5, v6
	s_waitcnt_depctr 0xfff
	v_mul_f32_e32 v15, v4, v10
	s_delay_alu instid0(VALU_DEP_1) | instskip(NEXT) | instid1(VALU_DEP_1)
	v_mul_f32_e32 v16, v7, v15
	v_fma_f32 v6, v15, v7, -v16
	s_delay_alu instid0(VALU_DEP_1) | instskip(NEXT) | instid1(VALU_DEP_1)
	v_fmac_f32_e32 v6, v15, v5
	v_add_f32_e32 v17, v16, v6
	s_delay_alu instid0(VALU_DEP_1) | instskip(NEXT) | instid1(VALU_DEP_1)
	v_sub_f32_e32 v25, v4, v17
	v_dual_sub_f32 v1, v17, v16 :: v_dual_sub_f32 v4, v4, v25
	s_delay_alu instid0(VALU_DEP_1) | instskip(NEXT) | instid1(VALU_DEP_1)
	v_dual_sub_f32 v1, v1, v6 :: v_dual_sub_f32 v4, v4, v17
	v_dual_add_f32 v0, v0, v4 :: v_dual_and_b32 v17, 3, v2
	s_delay_alu instid0(VALU_DEP_1) | instskip(SKIP_1) | instid1(VALU_DEP_2)
	v_add_f32_e32 v4, v1, v0
	v_mad_u64_u32 v[0:1], null, 0xcd9e8d57, v13, 0
	v_add_f32_e32 v6, v25, v4
	s_delay_alu instid0(VALU_DEP_1) | instskip(SKIP_2) | instid1(VALU_DEP_3)
	v_mul_f32_e32 v16, v10, v6
	v_sub_f32_e32 v2, v25, v6
	v_lshrrev_b32_e32 v25, 2, v3
	v_mul_f32_e32 v27, v7, v16
	v_add_f32_e32 v36, v15, v16
	s_delay_alu instid0(VALU_DEP_3) | instskip(SKIP_1) | instid1(VALU_DEP_4)
	v_xor3_b32 v1, v11, v1, v25
	v_add_f32_e32 v4, v4, v2
	v_fma_f32 v7, v16, v7, -v27
	s_delay_alu instid0(VALU_DEP_1) | instskip(NEXT) | instid1(VALU_DEP_1)
	v_fmac_f32_e32 v7, v16, v5
	v_add_f32_e32 v5, v27, v7
	s_delay_alu instid0(VALU_DEP_1) | instskip(NEXT) | instid1(VALU_DEP_1)
	v_sub_f32_e32 v29, v6, v5
	v_dual_sub_f32 v3, v6, v29 :: v_dual_sub_f32 v6, v5, v27
	v_add_co_u32 v27, null, 0x78dde6e4, v11
	s_delay_alu instid0(VALU_DEP_2) | instskip(SKIP_2) | instid1(VALU_DEP_3)
	v_dual_sub_f32 v5, v3, v5 :: v_dual_sub_f32 v6, v6, v7
	v_mad_u64_u32 v[2:3], null, 0xd2511f53, v24, 0
	v_sub_f32_e32 v7, v36, v15
	v_add_f32_e32 v4, v4, v5
	s_delay_alu instid0(VALU_DEP_3) | instskip(NEXT) | instid1(VALU_DEP_2)
	v_xor_b32_e32 v5, v3, v12
	v_add_f32_e32 v6, v6, v4
	v_mad_u64_u32 v[3:4], null, 0xd2511f53, v1, 0
	s_delay_alu instid0(VALU_DEP_3) | instskip(NEXT) | instid1(VALU_DEP_3)
	v_xor_b32_e32 v1, v5, v14
	v_add_f32_e32 v15, v29, v6
	v_add_co_u32 v29, null, 0xbb67ae85, v38
	s_delay_alu instid0(VALU_DEP_3) | instskip(SKIP_1) | instid1(VALU_DEP_4)
	v_mad_u64_u32 v[5:6], null, 0xcd9e8d57, v1, 0
	v_sub_f32_e32 v1, v16, v7
	v_mul_f32_e32 v7, v10, v15
	s_delay_alu instid0(VALU_DEP_4) | instskip(NEXT) | instid1(VALU_DEP_4)
	v_xor3_b32 v4, v29, v4, v2
	v_xor3_b32 v0, v23, v6, v0
	s_delay_alu instid0(VALU_DEP_3) | instskip(NEXT) | instid1(VALU_DEP_3)
	v_add_f32_e32 v10, v1, v7
	v_mad_u64_u32 v[1:2], null, 0xcd9e8d57, v4, 0
	s_delay_alu instid0(VALU_DEP_3) | instskip(NEXT) | instid1(VALU_DEP_3)
	v_mad_u64_u32 v[6:7], null, 0xd2511f53, v0, 0
	v_add_f32_e32 v15, v36, v10
	v_mov_b32_e32 v31, v13
	s_delay_alu instid0(VALU_DEP_4) | instskip(NEXT) | instid1(VALU_DEP_3)
	v_xor3_b32 v2, v26, v2, v5
	v_mul_f32_e32 v0, v15, v15
	v_xor3_b32 v7, v32, v7, v3
	s_delay_alu instid0(VALU_DEP_3) | instskip(NEXT) | instid1(VALU_DEP_3)
	v_mad_u64_u32 v[4:5], null, 0xd2511f53, v2, 0
	v_fmaak_f32 v16, s11, v0, 0x3ecc95a3
	s_delay_alu instid0(VALU_DEP_3) | instskip(SKIP_2) | instid1(VALU_DEP_3)
	v_mad_u64_u32 v[2:3], null, 0xcd9e8d57, v7, 0
	v_mul_f32_e32 v35, v15, v0
	s_cselect_b32 s11, -1, 0
	v_fmaak_f32 v0, v0, v16, 0x3f2aaada
	s_cmp_lg_u32 s4, 0
	s_cselect_b32 s27, -1, 0
	s_delay_alu instid0(VALU_DEP_3) | instskip(NEXT) | instid1(VALU_DEP_2)
	v_xor3_b32 v3, v22, v3, v1
	v_mul_f32_e32 v16, v35, v0
	v_xor3_b32 v0, v34, v5, v6
	v_mul_f32_e32 v40, 0x3f317218, v8
	v_ldexp_f32 v7, v15, 1
	v_add_co_u32 v35, null, 0x646e171e, v38
	s_delay_alu instid0(VALU_DEP_4)
	v_mad_u64_u32 v[5:6], null, 0xcd9e8d57, v0, 0
	v_mad_u64_u32 v[0:1], null, 0xd2511f53, v3, 0
	v_fma_f32 v3, 0x3f317218, v8, -v40
	v_sub_f32_e32 v15, v15, v36
	v_add_co_u32 v36, null, 0xed9eba14, v38
	v_xor3_b32 v6, v27, v6, v2
	s_delay_alu instid0(VALU_DEP_4) | instskip(NEXT) | instid1(VALU_DEP_4)
	v_dual_fmamk_f32 v8, v8, 0xb102e308, v3 :: v_dual_add_f32 v39, v7, v16
	v_sub_f32_e32 v10, v10, v15
	s_delay_alu instid0(VALU_DEP_4) | instskip(NEXT) | instid1(VALU_DEP_4)
	v_xor3_b32 v1, v36, v1, v4
	v_mad_u64_u32 v[2:3], null, 0xd2511f53, v6, 0
	s_delay_alu instid0(VALU_DEP_4) | instskip(NEXT) | instid1(VALU_DEP_4)
	v_sub_f32_e32 v7, v39, v7
	v_ldexp_f32 v10, v10, 1
	v_add_co_u32 v38, null, 0x1fd5c5a3, v38
	s_add_u32 s0, s0, 0xf4
	s_delay_alu instid0(VALU_DEP_3)
	v_sub_f32_e32 v7, v16, v7
	v_add_f32_e32 v15, v40, v8
	v_xor3_b32 v3, v37, v3, v0
	s_addc_u32 s1, s1, 0
	s_min_u32 s21, s20, 15
	v_add_f32_e32 v10, v10, v7
	v_mad_u64_u32 v[6:7], null, 0xcd9e8d57, v1, 0
	v_mad_u64_u32 v[0:1], null, 0xcd9e8d57, v3, 0
	s_cmp_gt_u32 s4, 1
	s_cselect_b32 s4, -1, 0
	s_add_i32 s21, s21, 1
	s_delay_alu instid0(VALU_DEP_2) | instskip(SKIP_2) | instid1(VALU_DEP_4)
	v_xor3_b32 v5, v21, v7, v5
	v_sub_f32_e32 v7, v15, v40
	v_add_f32_e32 v16, v39, v10
	v_xor3_b32 v6, v28, v1, v6
	s_lshl_b32 s28, s24, 1
	v_mad_u64_u32 v[3:4], null, 0xd2511f53, v5, 0
	v_sub_f32_e32 v7, v8, v7
	v_sub_f32_e32 v39, v16, v39
	v_add_f32_e32 v41, v15, v16
	s_and_b32 s29, s21, 3
	s_cmp_lg_u32 s20, 2
	v_cmp_gt_f32_e64 s20, 0x33800000, |v9|
	v_sub_f32_e32 v8, v10, v39
	v_sub_f32_e32 v42, v41, v15
	s_cselect_b32 s30, -1, 0
	s_and_b32 s31, s21, 28
	s_cmp_lg_u32 s29, 0
	s_delay_alu instid0(VALU_DEP_1) | instskip(SKIP_1) | instid1(VALU_DEP_1)
	v_sub_f32_e32 v40, v41, v42
	s_cselect_b32 s34, -1, 0
	v_sub_f32_e32 v10, v15, v40
	v_add_f32_e32 v15, v7, v8
	v_dual_sub_f32 v5, v16, v42 :: v_dual_mov_b32 v40, v14
	s_delay_alu instid0(VALU_DEP_1) | instskip(SKIP_2) | instid1(VALU_DEP_3)
	v_dual_sub_f32 v16, v15, v7 :: v_dual_add_f32 v5, v5, v10
	v_xor3_b32 v10, v35, v4, v2
	v_mad_u64_u32 v[1:2], null, 0xd2511f53, v6, 0
	v_sub_f32_e32 v6, v15, v16
	s_delay_alu instid0(VALU_DEP_4) | instskip(NEXT) | instid1(VALU_DEP_4)
	v_dual_add_f32 v39, v15, v5 :: v_dual_sub_f32 v8, v8, v16
	v_mad_u64_u32 v[4:5], null, 0xcd9e8d57, v10, 0
	s_delay_alu instid0(VALU_DEP_3) | instskip(NEXT) | instid1(VALU_DEP_3)
	v_sub_f32_e32 v6, v7, v6
	v_add_f32_e32 v10, v41, v39
	v_xor3_b32 v2, v38, v2, v3
	s_delay_alu instid0(VALU_DEP_3) | instskip(NEXT) | instid1(VALU_DEP_3)
	v_add_f32_e32 v3, v8, v6
	v_sub_f32_e32 v7, v10, v41
	v_xor3_b32 v0, v20, v5, v0
	s_delay_alu instid0(VALU_DEP_4) | instskip(NEXT) | instid1(VALU_DEP_3)
	v_mad_u64_u32 v[5:6], null, 0xcd9e8d57, v2, 0
	v_sub_f32_e32 v15, v39, v7
	s_delay_alu instid0(VALU_DEP_3) | instskip(NEXT) | instid1(VALU_DEP_2)
	v_mad_u64_u32 v[7:8], null, 0xd2511f53, v0, 0
	v_add_f32_e32 v0, v3, v15
	s_delay_alu instid0(VALU_DEP_4) | instskip(NEXT) | instid1(VALU_DEP_3)
	v_xor3_b32 v2, v30, v6, v4
	v_xor3_b32 v6, v33, v8, v1
	s_delay_alu instid0(VALU_DEP_3) | instskip(NEXT) | instid1(VALU_DEP_3)
	v_add_f32_e32 v0, v10, v0
	v_mad_u64_u32 v[3:4], null, 0xd2511f53, v2, 0
	s_delay_alu instid0(VALU_DEP_3) | instskip(NEXT) | instid1(VALU_DEP_3)
	v_mad_u64_u32 v[1:2], null, 0xcd9e8d57, v6, 0
	v_cndmask_b32_e64 v0, v0, -v9, vcc_lo
	v_cmp_nlt_f32_e32 vcc_lo, 1.0, v9
	s_delay_alu instid0(VALU_DEP_2) | instskip(SKIP_1) | instid1(VALU_DEP_2)
	v_cndmask_b32_e32 v0, 0x7fc00000, v0, vcc_lo
	v_cmp_neq_f32_e32 vcc_lo, 1.0, v9
	v_cndmask_b32_e32 v6, 0xff800000, v0, vcc_lo
	v_xor3_b32 v0, v2, v5, v18
	v_xor3_b32 v2, v4, v7, v19
	s_delay_alu instid0(VALU_DEP_3)
	v_cndmask_b32_e64 v39, v6, -v9, s20
	s_branch .LBB19_9
.LBB19_7:                               ;   in Loop: Header=BB19_9 Depth=1
	v_cvt_f32_u32_e32 v0, v3
	s_delay_alu instid0(VALU_DEP_1) | instskip(NEXT) | instid1(VALU_DEP_1)
	v_fmaak_f32 v0, 0x2f800000, v0, 0x2f800000
	v_cmp_gt_f32_e32 vcc_lo, 0x800000, v0
	v_cndmask_b32_e64 v2, 1.0, 0x4f800000, vcc_lo
	s_delay_alu instid0(VALU_DEP_1) | instskip(NEXT) | instid1(VALU_DEP_1)
	v_mul_f32_e32 v0, v0, v2
	v_log_f32_e32 v0, v0
	s_waitcnt_depctr 0xfff
	v_mul_f32_e32 v2, 0x3f317217, v0
	s_delay_alu instid0(VALU_DEP_1) | instskip(NEXT) | instid1(VALU_DEP_1)
	v_fma_f32 v3, 0x3f317217, v0, -v2
	v_fmac_f32_e32 v3, 0x3377d1cf, v0
	s_delay_alu instid0(VALU_DEP_1) | instskip(SKIP_2) | instid1(VALU_DEP_3)
	v_add_f32_e32 v2, v2, v3
	v_cndmask_b32_e64 v3, 0, 0x41b17218, vcc_lo
	v_cmp_gt_f32_e64 vcc_lo, 0x7f800000, |v0|
	v_cndmask_b32_e32 v0, v0, v2, vcc_lo
	s_delay_alu instid0(VALU_DEP_1) | instskip(NEXT) | instid1(VALU_DEP_1)
	v_sub_f32_e32 v0, v0, v3
	v_div_scale_f32 v2, null, v39, v39, v0
	s_delay_alu instid0(VALU_DEP_1) | instskip(SKIP_2) | instid1(VALU_DEP_1)
	v_rcp_f32_e32 v3, v2
	s_waitcnt_depctr 0xfff
	v_fma_f32 v7, -v2, v3, 1.0
	v_fmac_f32_e32 v3, v7, v3
	v_div_scale_f32 v7, vcc_lo, v0, v39, v0
	s_delay_alu instid0(VALU_DEP_1) | instskip(NEXT) | instid1(VALU_DEP_1)
	v_mul_f32_e32 v8, v7, v3
	v_fma_f32 v9, -v2, v8, v7
	s_delay_alu instid0(VALU_DEP_1) | instskip(NEXT) | instid1(VALU_DEP_1)
	v_fmac_f32_e32 v8, v9, v3
	v_fma_f32 v2, -v2, v8, v7
	s_delay_alu instid0(VALU_DEP_1) | instskip(NEXT) | instid1(VALU_DEP_1)
	v_div_fmas_f32 v2, v2, v3, v8
	v_div_fixup_f32 v0, v2, v39, v0
	s_delay_alu instid0(VALU_DEP_1) | instskip(NEXT) | instid1(VALU_DEP_1)
	v_ceil_f32_e32 v0, v0
	v_cvt_i32_f32_e32 v0, v0
	global_store_b16 v1, v0, s[12:13]
.LBB19_8:                               ;   in Loop: Header=BB19_9 Depth=1
	s_or_b32 exec_lo, exec_lo, s35
	v_add_co_u32 v13, vcc_lo, v13, s25
	v_add_co_ci_u32_e32 v14, vcc_lo, 0, v14, vcc_lo
	v_mov_b32_e32 v7, v15
	v_dual_mov_b32 v0, v4 :: v_dual_mov_b32 v1, v5
	s_delay_alu instid0(VALU_DEP_3) | instskip(NEXT) | instid1(VALU_DEP_3)
	v_cmp_le_i64_e32 vcc_lo, s[2:3], v[13:14]
	v_dual_mov_b32 v2, v6 :: v_dual_mov_b32 v3, v7
	s_waitcnt lgkmcnt(0)
	s_waitcnt_vscnt null, 0x0
	s_barrier
	buffer_gl0_inv
	s_or_b32 s26, vcc_lo, s26
	s_delay_alu instid0(SALU_CYCLE_1)
	s_and_not1_b32 exec_lo, exec_lo, s26
	s_cbranch_execz .LBB19_78
.LBB19_9:                               ; =>This Loop Header: Depth=1
                                        ;     Child Loop BB19_24 Depth 2
                                        ;     Child Loop BB19_29 Depth 2
                                        ;     Child Loop BB19_39 Depth 2
                                        ;     Child Loop BB19_44 Depth 2
                                        ;     Child Loop BB19_54 Depth 2
                                        ;     Child Loop BB19_59 Depth 2
                                        ;     Child Loop BB19_69 Depth 2
                                        ;     Child Loop BB19_74 Depth 2
	v_add_co_u32 v24, vcc_lo, v24, 1
	s_delay_alu instid0(VALU_DEP_1) | instskip(SKIP_2) | instid1(VALU_DEP_1)
	v_cndmask_b32_e64 v4, 0, 1, vcc_lo
	v_add_co_ci_u32_e32 v25, vcc_lo, 0, v25, vcc_lo
	s_mov_b32 s20, exec_lo
	v_cmp_eq_u32_e32 vcc_lo, 0, v25
	s_delay_alu instid0(VALU_DEP_3) | instskip(NEXT) | instid1(VALU_DEP_1)
	v_cndmask_b32_e32 v4, 0, v4, vcc_lo
	v_add_nc_u32_e32 v31, v4, v31
	s_delay_alu instid0(VALU_DEP_1) | instskip(SKIP_2) | instid1(VALU_DEP_2)
	v_cmp_eq_u32_e32 vcc_lo, 0, v31
	v_cndmask_b32_e32 v4, 0, v4, vcc_lo
	v_mad_u64_u32 v[6:7], null, 0xcd9e8d57, v31, 0
	v_add_nc_u32_e32 v40, v4, v40
	v_mad_u64_u32 v[4:5], null, 0xd2511f53, v24, 0
	s_delay_alu instid0(VALU_DEP_3) | instskip(NEXT) | instid1(VALU_DEP_2)
	v_xor3_b32 v9, v7, v11, v25
	v_xor_b32_e32 v5, v5, v12
	s_delay_alu instid0(VALU_DEP_2) | instskip(NEXT) | instid1(VALU_DEP_2)
	v_mad_u64_u32 v[7:8], null, 0xd2511f53, v9, 0
	v_xor_b32_e32 v5, v40, v5
	s_delay_alu instid0(VALU_DEP_2) | instskip(NEXT) | instid1(VALU_DEP_2)
	v_xor3_b32 v8, v29, v8, v4
	v_mad_u64_u32 v[9:10], null, 0xcd9e8d57, v5, 0
	s_delay_alu instid0(VALU_DEP_2) | instskip(NEXT) | instid1(VALU_DEP_2)
	v_mad_u64_u32 v[4:5], null, 0xcd9e8d57, v8, 0
	v_xor3_b32 v6, v23, v10, v6
	s_delay_alu instid0(VALU_DEP_2) | instskip(NEXT) | instid1(VALU_DEP_2)
	v_xor3_b32 v8, v26, v5, v9
	v_mad_u64_u32 v[15:16], null, 0xd2511f53, v6, 0
	s_delay_alu instid0(VALU_DEP_2) | instskip(NEXT) | instid1(VALU_DEP_2)
	v_mad_u64_u32 v[5:6], null, 0xd2511f53, v8, 0
	v_xor3_b32 v9, v32, v16, v7
	s_delay_alu instid0(VALU_DEP_2) | instskip(NEXT) | instid1(VALU_DEP_2)
	v_xor3_b32 v6, v34, v6, v15
	v_mad_u64_u32 v[7:8], null, 0xcd9e8d57, v9, 0
	s_delay_alu instid0(VALU_DEP_1) | instskip(NEXT) | instid1(VALU_DEP_3)
	v_xor3_b32 v4, v22, v8, v4
	v_mad_u64_u32 v[8:9], null, 0xcd9e8d57, v6, 0
	s_delay_alu instid0(VALU_DEP_2) | instskip(NEXT) | instid1(VALU_DEP_2)
	v_mad_u64_u32 v[15:16], null, 0xd2511f53, v4, 0
	v_xor3_b32 v6, v27, v9, v7
	s_delay_alu instid0(VALU_DEP_2) | instskip(NEXT) | instid1(VALU_DEP_2)
	v_xor3_b32 v9, v36, v16, v5
	v_mad_u64_u32 v[4:5], null, 0xd2511f53, v6, 0
	s_delay_alu instid0(VALU_DEP_2) | instskip(NEXT) | instid1(VALU_DEP_2)
	v_mad_u64_u32 v[6:7], null, 0xcd9e8d57, v9, 0
	v_xor3_b32 v5, v37, v5, v15
	s_delay_alu instid0(VALU_DEP_2) | instskip(NEXT) | instid1(VALU_DEP_2)
	v_xor3_b32 v15, v21, v7, v8
	v_mad_u64_u32 v[7:8], null, 0xcd9e8d57, v5, 0
	s_delay_alu instid0(VALU_DEP_2) | instskip(NEXT) | instid1(VALU_DEP_2)
	v_mad_u64_u32 v[9:10], null, 0xd2511f53, v15, 0
	v_xor3_b32 v6, v28, v8, v6
	s_delay_alu instid0(VALU_DEP_2) | instskip(NEXT) | instid1(VALU_DEP_2)
	v_xor3_b32 v8, v35, v10, v4
	v_mad_u64_u32 v[4:5], null, 0xd2511f53, v6, 0
	s_delay_alu instid0(VALU_DEP_2) | instskip(NEXT) | instid1(VALU_DEP_2)
	v_mad_u64_u32 v[15:16], null, 0xcd9e8d57, v8, 0
	v_xor3_b32 v5, v38, v5, v9
	s_delay_alu instid0(VALU_DEP_2) | instskip(NEXT) | instid1(VALU_DEP_2)
	v_xor3_b32 v6, v20, v16, v7
	v_mad_u64_u32 v[7:8], null, 0xcd9e8d57, v5, 0
	s_delay_alu instid0(VALU_DEP_2) | instskip(NEXT) | instid1(VALU_DEP_2)
	v_mad_u64_u32 v[9:10], null, 0xd2511f53, v6, 0
	v_xor3_b32 v5, v30, v8, v15
	s_delay_alu instid0(VALU_DEP_2) | instskip(NEXT) | instid1(VALU_DEP_2)
	v_xor3_b32 v4, v33, v10, v4
	v_mad_u64_u32 v[15:16], null, 0xd2511f53, v5, 0
	s_delay_alu instid0(VALU_DEP_2) | instskip(NEXT) | instid1(VALU_DEP_2)
	v_mad_u64_u32 v[5:6], null, 0xcd9e8d57, v4, 0
	v_xor3_b32 v10, v16, v9, v19
	s_delay_alu instid0(VALU_DEP_2) | instskip(NEXT) | instid1(VALU_DEP_2)
	v_xor3_b32 v4, v6, v7, v18
	v_mov_b32_e32 v6, v10
	v_cmpx_lt_i32_e32 1, v17
	s_xor_b32 s20, exec_lo, s20
	s_cbranch_execnz .LBB19_12
; %bb.10:                               ;   in Loop: Header=BB19_9 Depth=1
	s_and_not1_saveexec_b32 s20, s20
	s_cbranch_execnz .LBB19_17
.LBB19_11:                              ;   in Loop: Header=BB19_9 Depth=1
	s_or_b32 exec_lo, exec_lo, s20
	s_delay_alu instid0(SALU_CYCLE_1)
	s_mov_b32 s35, exec_lo
	v_cmpx_gt_i64_e64 s[16:17], v[13:14]
	s_cbranch_execnz .LBB19_20
	s_branch .LBB19_34
.LBB19_12:                              ;   in Loop: Header=BB19_9 Depth=1
	s_mov_b32 s21, exec_lo
	v_cmpx_lt_i32_e32 2, v17
	s_xor_b32 s21, exec_lo, s21
; %bb.13:                               ;   in Loop: Header=BB19_9 Depth=1
	v_dual_mov_b32 v7, v3 :: v_dual_mov_b32 v8, v4
	v_mov_b32_e32 v9, v5
	s_delay_alu instid0(VALU_DEP_2) | instskip(NEXT) | instid1(VALU_DEP_2)
	v_dual_mov_b32 v0, v7 :: v_dual_mov_b32 v1, v8
	v_dual_mov_b32 v2, v9 :: v_dual_mov_b32 v3, v10
; %bb.14:                               ;   in Loop: Header=BB19_9 Depth=1
	s_and_not1_saveexec_b32 s21, s21
; %bb.15:                               ;   in Loop: Header=BB19_9 Depth=1
	s_delay_alu instid0(VALU_DEP_1)
	v_dual_mov_b32 v0, v2 :: v_dual_mov_b32 v1, v3
	v_dual_mov_b32 v2, v4 :: v_dual_mov_b32 v3, v5
; %bb.16:                               ;   in Loop: Header=BB19_9 Depth=1
	s_or_b32 exec_lo, exec_lo, s21
	s_and_not1_saveexec_b32 s20, s20
	s_cbranch_execz .LBB19_11
.LBB19_17:                              ;   in Loop: Header=BB19_9 Depth=1
	s_mov_b32 s21, exec_lo
	v_cmpx_eq_u32_e32 1, v17
; %bb.18:                               ;   in Loop: Header=BB19_9 Depth=1
	v_dual_mov_b32 v0, v1 :: v_dual_mov_b32 v1, v2
	v_dual_mov_b32 v2, v3 :: v_dual_mov_b32 v3, v4
; %bb.19:                               ;   in Loop: Header=BB19_9 Depth=1
	s_or_b32 exec_lo, exec_lo, s21
	s_delay_alu instid0(SALU_CYCLE_1) | instskip(NEXT) | instid1(SALU_CYCLE_1)
	s_or_b32 exec_lo, exec_lo, s20
	s_mov_b32 s35, exec_lo
	v_cmpx_gt_i64_e64 s[16:17], v[13:14]
	s_cbranch_execz .LBB19_34
.LBB19_20:                              ;   in Loop: Header=BB19_9 Depth=1
	s_and_not1_b32 vcc_lo, exec_lo, s11
	s_cbranch_vccnz .LBB19_26
; %bb.21:                               ;   in Loop: Header=BB19_9 Depth=1
	v_mov_b32_e32 v7, 0
	s_and_not1_b32 vcc_lo, exec_lo, s27
	s_cbranch_vccnz .LBB19_30
; %bb.22:                               ;   in Loop: Header=BB19_9 Depth=1
	s_and_not1_b32 vcc_lo, exec_lo, s30
	s_mov_b32 s20, 0
	s_cbranch_vccnz .LBB19_27
; %bb.23:                               ;   in Loop: Header=BB19_9 Depth=1
	v_dual_mov_b32 v7, 0 :: v_dual_mov_b32 v8, v13
	s_mov_b32 s36, 0
	s_mov_b64 s[20:21], s[18:19]
	s_mov_b64 s[22:23], s[0:1]
.LBB19_24:                              ;   Parent Loop BB19_9 Depth=1
                                        ; =>  This Inner Loop Header: Depth=2
	s_clause 0x1
	s_load_b256 s[40:47], s[20:21], 0x4
	s_load_b128 s[48:51], s[20:21], 0x24
	s_load_b128 s[52:55], s[22:23], 0x0
	s_add_u32 s20, s20, 48
	s_addc_u32 s21, s21, 0
	s_add_i32 s36, s36, 4
	s_add_u32 s22, s22, 16
	s_addc_u32 s23, s23, 0
	s_cmp_lg_u32 s31, s36
	s_waitcnt lgkmcnt(0)
	v_mul_hi_u32 v9, s41, v8
	s_delay_alu instid0(VALU_DEP_1) | instskip(NEXT) | instid1(VALU_DEP_1)
	v_add_nc_u32_e32 v9, v8, v9
	v_lshrrev_b32_e32 v9, s42, v9
	s_delay_alu instid0(VALU_DEP_1) | instskip(SKIP_1) | instid1(VALU_DEP_2)
	v_mul_hi_u32 v10, s44, v9
	v_mul_lo_u32 v42, v9, s40
	v_add_nc_u32_e32 v10, v9, v10
	s_delay_alu instid0(VALU_DEP_2) | instskip(NEXT) | instid1(VALU_DEP_2)
	v_sub_nc_u32_e32 v42, v8, v42
	v_lshrrev_b32_e32 v10, s45, v10
	s_delay_alu instid0(VALU_DEP_2) | instskip(NEXT) | instid1(VALU_DEP_2)
	v_mul_lo_u32 v42, v42, s52
	v_mul_hi_u32 v16, s47, v10
	v_mul_lo_u32 v43, v10, s43
	s_delay_alu instid0(VALU_DEP_2) | instskip(NEXT) | instid1(VALU_DEP_2)
	v_add_nc_u32_e32 v16, v10, v16
	v_sub_nc_u32_e32 v9, v9, v43
	s_delay_alu instid0(VALU_DEP_2) | instskip(NEXT) | instid1(VALU_DEP_2)
	v_lshrrev_b32_e32 v16, s48, v16
	v_mul_lo_u32 v9, v9, s53
	s_delay_alu instid0(VALU_DEP_2) | instskip(NEXT) | instid1(VALU_DEP_2)
	v_mul_hi_u32 v41, s50, v16
	v_add3_u32 v7, v42, v7, v9
	s_delay_alu instid0(VALU_DEP_2) | instskip(NEXT) | instid1(VALU_DEP_1)
	v_add_nc_u32_e32 v41, v16, v41
	v_lshrrev_b32_e32 v8, s51, v41
	v_mul_lo_u32 v41, v16, s46
	s_delay_alu instid0(VALU_DEP_2) | instskip(NEXT) | instid1(VALU_DEP_2)
	v_mul_lo_u32 v44, v8, s49
	v_sub_nc_u32_e32 v10, v10, v41
	s_delay_alu instid0(VALU_DEP_2) | instskip(NEXT) | instid1(VALU_DEP_2)
	v_sub_nc_u32_e32 v16, v16, v44
	v_mul_lo_u32 v10, v10, s54
	s_delay_alu instid0(VALU_DEP_2) | instskip(NEXT) | instid1(VALU_DEP_1)
	v_mul_lo_u32 v16, v16, s55
	v_add3_u32 v7, v10, v7, v16
	s_cbranch_scc1 .LBB19_24
; %bb.25:                               ;   in Loop: Header=BB19_9 Depth=1
	s_mov_b32 s20, s31
	s_and_not1_b32 vcc_lo, exec_lo, s34
	s_cbranch_vccz .LBB19_28
	s_branch .LBB19_30
.LBB19_26:                              ;   in Loop: Header=BB19_9 Depth=1
                                        ; implicit-def: $vgpr7
	s_branch .LBB19_31
.LBB19_27:                              ;   in Loop: Header=BB19_9 Depth=1
	v_mov_b32_e32 v8, v13
	s_and_not1_b32 vcc_lo, exec_lo, s34
	s_cbranch_vccnz .LBB19_30
.LBB19_28:                              ;   in Loop: Header=BB19_9 Depth=1
	s_lshl_b32 s21, s20, 2
	s_mul_i32 s22, s20, 12
	s_add_u32 s20, s0, s21
	s_addc_u32 s21, s1, 0
	s_add_u32 s22, s18, s22
	s_addc_u32 s23, s19, 0
	s_mov_b32 s36, s29
	.p2align	6
.LBB19_29:                              ;   Parent Loop BB19_9 Depth=1
                                        ; =>  This Inner Loop Header: Depth=2
	s_clause 0x1
	s_load_b64 s[38:39], s[22:23], 0x4
	s_load_b32 s37, s[22:23], 0xc
	s_add_u32 s22, s22, 12
	s_addc_u32 s23, s23, 0
	s_waitcnt lgkmcnt(0)
	v_mul_hi_u32 v9, s39, v8
	s_load_b32 s39, s[20:21], 0x0
	s_add_u32 s20, s20, 4
	s_addc_u32 s21, s21, 0
	s_add_i32 s36, s36, -1
	s_delay_alu instid0(SALU_CYCLE_1) | instskip(NEXT) | instid1(VALU_DEP_1)
	s_cmp_lg_u32 s36, 0
	v_add_nc_u32_e32 v9, v8, v9
	s_delay_alu instid0(VALU_DEP_1) | instskip(NEXT) | instid1(VALU_DEP_1)
	v_lshrrev_b32_e32 v16, s37, v9
	v_mul_lo_u32 v9, v16, s38
	s_delay_alu instid0(VALU_DEP_1) | instskip(SKIP_1) | instid1(VALU_DEP_1)
	v_sub_nc_u32_e32 v8, v8, v9
	s_waitcnt lgkmcnt(0)
	v_mad_u64_u32 v[9:10], null, v8, s39, v[7:8]
	s_delay_alu instid0(VALU_DEP_1)
	v_dual_mov_b32 v8, v16 :: v_dual_mov_b32 v7, v9
	s_cbranch_scc1 .LBB19_29
.LBB19_30:                              ;   in Loop: Header=BB19_9 Depth=1
	s_cbranch_execnz .LBB19_33
.LBB19_31:                              ;   in Loop: Header=BB19_9 Depth=1
	v_mul_hi_u32 v7, v13, s6
	s_and_not1_b32 vcc_lo, exec_lo, s4
	s_delay_alu instid0(VALU_DEP_1) | instskip(NEXT) | instid1(VALU_DEP_1)
	v_add_nc_u32_e32 v7, v7, v13
	v_lshrrev_b32_e32 v8, s7, v7
	s_delay_alu instid0(VALU_DEP_1) | instskip(NEXT) | instid1(VALU_DEP_1)
	v_mul_lo_u32 v7, v8, s5
	v_sub_nc_u32_e32 v7, v13, v7
	s_waitcnt lgkmcnt(0)
	s_delay_alu instid0(VALU_DEP_1)
	v_mul_lo_u32 v7, v7, s14
	s_cbranch_vccnz .LBB19_33
; %bb.32:                               ;   in Loop: Header=BB19_9 Depth=1
	v_mul_hi_u32 v9, s9, v8
	s_delay_alu instid0(VALU_DEP_1) | instskip(NEXT) | instid1(VALU_DEP_1)
	v_add_nc_u32_e32 v9, v8, v9
	v_lshrrev_b32_e32 v9, s10, v9
	s_delay_alu instid0(VALU_DEP_1) | instskip(NEXT) | instid1(VALU_DEP_1)
	v_mul_lo_u32 v9, v9, s8
	v_sub_nc_u32_e32 v10, v8, v9
	s_delay_alu instid0(VALU_DEP_1) | instskip(NEXT) | instid1(VALU_DEP_1)
	v_mad_u64_u32 v[8:9], null, v10, s15, v[7:8]
	v_mov_b32_e32 v7, v8
.LBB19_33:                              ;   in Loop: Header=BB19_9 Depth=1
	v_cvt_f32_u32_e32 v0, v0
	s_delay_alu instid0(VALU_DEP_1) | instskip(NEXT) | instid1(VALU_DEP_1)
	v_fmaak_f32 v0, 0x2f800000, v0, 0x2f800000
	v_cmp_gt_f32_e32 vcc_lo, 0x800000, v0
	v_cndmask_b32_e64 v8, 1.0, 0x4f800000, vcc_lo
	s_delay_alu instid0(VALU_DEP_1) | instskip(NEXT) | instid1(VALU_DEP_1)
	v_mul_f32_e32 v0, v0, v8
	v_log_f32_e32 v0, v0
	s_waitcnt_depctr 0xfff
	v_mul_f32_e32 v8, 0x3f317217, v0
	s_delay_alu instid0(VALU_DEP_1) | instskip(NEXT) | instid1(VALU_DEP_1)
	v_fma_f32 v9, 0x3f317217, v0, -v8
	v_fmac_f32_e32 v9, 0x3377d1cf, v0
	s_delay_alu instid0(VALU_DEP_1) | instskip(SKIP_2) | instid1(VALU_DEP_3)
	v_add_f32_e32 v8, v8, v9
	v_cndmask_b32_e64 v9, 0, 0x41b17218, vcc_lo
	v_cmp_gt_f32_e64 vcc_lo, 0x7f800000, |v0|
	v_cndmask_b32_e32 v0, v0, v8, vcc_lo
	s_delay_alu instid0(VALU_DEP_1) | instskip(NEXT) | instid1(VALU_DEP_1)
	v_sub_f32_e32 v0, v0, v9
	v_div_scale_f32 v8, null, v39, v39, v0
	s_delay_alu instid0(VALU_DEP_1) | instskip(SKIP_2) | instid1(VALU_DEP_1)
	v_rcp_f32_e32 v9, v8
	s_waitcnt_depctr 0xfff
	v_fma_f32 v10, -v8, v9, 1.0
	v_fmac_f32_e32 v9, v10, v9
	v_div_scale_f32 v10, vcc_lo, v0, v39, v0
	s_delay_alu instid0(VALU_DEP_1) | instskip(NEXT) | instid1(VALU_DEP_1)
	v_mul_f32_e32 v16, v10, v9
	v_fma_f32 v41, -v8, v16, v10
	s_delay_alu instid0(VALU_DEP_1) | instskip(NEXT) | instid1(VALU_DEP_1)
	v_fmac_f32_e32 v16, v41, v9
	v_fma_f32 v8, -v8, v16, v10
	s_delay_alu instid0(VALU_DEP_1) | instskip(NEXT) | instid1(VALU_DEP_1)
	v_div_fmas_f32 v8, v8, v9, v16
	v_div_fixup_f32 v0, v8, v39, v0
	s_delay_alu instid0(VALU_DEP_1) | instskip(NEXT) | instid1(VALU_DEP_1)
	v_ceil_f32_e32 v0, v0
	v_cvt_i32_f32_e32 v0, v0
	global_store_b16 v7, v0, s[12:13]
.LBB19_34:                              ;   in Loop: Header=BB19_9 Depth=1
	s_or_b32 exec_lo, exec_lo, s35
	v_add_co_u32 v7, vcc_lo, v13, s24
	v_add_co_ci_u32_e32 v8, vcc_lo, 0, v14, vcc_lo
	s_mov_b32 s35, exec_lo
	s_delay_alu instid0(VALU_DEP_1)
	v_cmpx_gt_i64_e64 s[16:17], v[7:8]
	s_cbranch_execz .LBB19_49
; %bb.35:                               ;   in Loop: Header=BB19_9 Depth=1
	s_and_not1_b32 vcc_lo, exec_lo, s11
	s_cbranch_vccnz .LBB19_41
; %bb.36:                               ;   in Loop: Header=BB19_9 Depth=1
	v_mov_b32_e32 v0, 0
	s_and_not1_b32 vcc_lo, exec_lo, s27
	s_cbranch_vccnz .LBB19_45
; %bb.37:                               ;   in Loop: Header=BB19_9 Depth=1
	s_and_not1_b32 vcc_lo, exec_lo, s30
	s_mov_b32 s20, 0
	s_cbranch_vccnz .LBB19_42
; %bb.38:                               ;   in Loop: Header=BB19_9 Depth=1
	v_mov_b32_e32 v0, 0
	v_mov_b32_e32 v8, v7
	s_mov_b32 s36, 0
	s_mov_b64 s[20:21], s[18:19]
	s_mov_b64 s[22:23], s[0:1]
.LBB19_39:                              ;   Parent Loop BB19_9 Depth=1
                                        ; =>  This Inner Loop Header: Depth=2
	s_clause 0x1
	s_load_b256 s[40:47], s[20:21], 0x4
	s_load_b128 s[48:51], s[20:21], 0x24
	s_load_b128 s[52:55], s[22:23], 0x0
	s_add_u32 s20, s20, 48
	s_addc_u32 s21, s21, 0
	s_add_i32 s36, s36, 4
	s_add_u32 s22, s22, 16
	s_addc_u32 s23, s23, 0
	s_cmp_eq_u32 s31, s36
	s_waitcnt lgkmcnt(0)
	v_mul_hi_u32 v9, s41, v8
	s_delay_alu instid0(VALU_DEP_1) | instskip(NEXT) | instid1(VALU_DEP_1)
	v_add_nc_u32_e32 v9, v8, v9
	v_lshrrev_b32_e32 v9, s42, v9
	s_delay_alu instid0(VALU_DEP_1) | instskip(SKIP_1) | instid1(VALU_DEP_2)
	v_mul_hi_u32 v10, s44, v9
	v_mul_lo_u32 v42, v9, s40
	v_add_nc_u32_e32 v10, v9, v10
	s_delay_alu instid0(VALU_DEP_2) | instskip(NEXT) | instid1(VALU_DEP_2)
	v_sub_nc_u32_e32 v42, v8, v42
	v_lshrrev_b32_e32 v10, s45, v10
	s_delay_alu instid0(VALU_DEP_2) | instskip(NEXT) | instid1(VALU_DEP_2)
	v_mul_lo_u32 v42, v42, s52
	v_mul_hi_u32 v16, s47, v10
	v_mul_lo_u32 v43, v10, s43
	s_delay_alu instid0(VALU_DEP_2) | instskip(NEXT) | instid1(VALU_DEP_2)
	v_add_nc_u32_e32 v16, v10, v16
	v_sub_nc_u32_e32 v9, v9, v43
	s_delay_alu instid0(VALU_DEP_2) | instskip(NEXT) | instid1(VALU_DEP_2)
	v_lshrrev_b32_e32 v16, s48, v16
	v_mul_lo_u32 v9, v9, s53
	s_delay_alu instid0(VALU_DEP_2) | instskip(NEXT) | instid1(VALU_DEP_2)
	v_mul_hi_u32 v41, s50, v16
	v_add3_u32 v0, v42, v0, v9
	s_delay_alu instid0(VALU_DEP_2) | instskip(NEXT) | instid1(VALU_DEP_1)
	v_add_nc_u32_e32 v41, v16, v41
	v_lshrrev_b32_e32 v8, s51, v41
	v_mul_lo_u32 v41, v16, s46
	s_delay_alu instid0(VALU_DEP_2) | instskip(NEXT) | instid1(VALU_DEP_2)
	v_mul_lo_u32 v44, v8, s49
	v_sub_nc_u32_e32 v10, v10, v41
	s_delay_alu instid0(VALU_DEP_2) | instskip(NEXT) | instid1(VALU_DEP_2)
	v_sub_nc_u32_e32 v16, v16, v44
	v_mul_lo_u32 v10, v10, s54
	s_delay_alu instid0(VALU_DEP_2) | instskip(NEXT) | instid1(VALU_DEP_1)
	v_mul_lo_u32 v16, v16, s55
	v_add3_u32 v0, v10, v0, v16
	s_cbranch_scc0 .LBB19_39
; %bb.40:                               ;   in Loop: Header=BB19_9 Depth=1
	s_mov_b32 s20, s31
	s_and_not1_b32 vcc_lo, exec_lo, s34
	s_cbranch_vccz .LBB19_43
	s_branch .LBB19_45
.LBB19_41:                              ;   in Loop: Header=BB19_9 Depth=1
                                        ; implicit-def: $vgpr0
	s_branch .LBB19_46
.LBB19_42:                              ;   in Loop: Header=BB19_9 Depth=1
	v_mov_b32_e32 v8, v7
	s_and_not1_b32 vcc_lo, exec_lo, s34
	s_cbranch_vccnz .LBB19_45
.LBB19_43:                              ;   in Loop: Header=BB19_9 Depth=1
	s_lshl_b32 s21, s20, 2
	s_mul_i32 s22, s20, 12
	s_add_u32 s20, s0, s21
	s_addc_u32 s21, s1, 0
	s_add_u32 s22, s18, s22
	s_addc_u32 s23, s19, 0
	s_mov_b32 s36, s29
	.p2align	6
.LBB19_44:                              ;   Parent Loop BB19_9 Depth=1
                                        ; =>  This Inner Loop Header: Depth=2
	s_clause 0x1
	s_load_b64 s[38:39], s[22:23], 0x4
	s_load_b32 s37, s[22:23], 0xc
	s_add_u32 s22, s22, 12
	s_addc_u32 s23, s23, 0
	s_waitcnt lgkmcnt(0)
	v_mul_hi_u32 v9, s39, v8
	s_load_b32 s39, s[20:21], 0x0
	s_add_u32 s20, s20, 4
	s_addc_u32 s21, s21, 0
	s_add_i32 s36, s36, -1
	s_delay_alu instid0(SALU_CYCLE_1) | instskip(NEXT) | instid1(VALU_DEP_1)
	s_cmp_lg_u32 s36, 0
	v_add_nc_u32_e32 v9, v8, v9
	s_delay_alu instid0(VALU_DEP_1) | instskip(NEXT) | instid1(VALU_DEP_1)
	v_lshrrev_b32_e32 v16, s37, v9
	v_mul_lo_u32 v9, v16, s38
	s_delay_alu instid0(VALU_DEP_1) | instskip(SKIP_1) | instid1(VALU_DEP_1)
	v_sub_nc_u32_e32 v8, v8, v9
	s_waitcnt lgkmcnt(0)
	v_mad_u64_u32 v[9:10], null, v8, s39, v[0:1]
	v_mov_b32_e32 v8, v16
	s_delay_alu instid0(VALU_DEP_2)
	v_mov_b32_e32 v0, v9
	s_cbranch_scc1 .LBB19_44
.LBB19_45:                              ;   in Loop: Header=BB19_9 Depth=1
	s_cbranch_execnz .LBB19_48
.LBB19_46:                              ;   in Loop: Header=BB19_9 Depth=1
	v_mul_hi_u32 v0, v7, s6
	s_and_not1_b32 vcc_lo, exec_lo, s4
	s_delay_alu instid0(VALU_DEP_1) | instskip(NEXT) | instid1(VALU_DEP_1)
	v_add_nc_u32_e32 v0, v0, v7
	v_lshrrev_b32_e32 v8, s7, v0
	s_delay_alu instid0(VALU_DEP_1) | instskip(NEXT) | instid1(VALU_DEP_1)
	v_mul_lo_u32 v0, v8, s5
	v_sub_nc_u32_e32 v0, v7, v0
	s_waitcnt lgkmcnt(0)
	s_delay_alu instid0(VALU_DEP_1)
	v_mul_lo_u32 v0, v0, s14
	s_cbranch_vccnz .LBB19_48
; %bb.47:                               ;   in Loop: Header=BB19_9 Depth=1
	v_mul_hi_u32 v7, s9, v8
	s_delay_alu instid0(VALU_DEP_1) | instskip(NEXT) | instid1(VALU_DEP_1)
	v_add_nc_u32_e32 v7, v8, v7
	v_lshrrev_b32_e32 v7, s10, v7
	s_delay_alu instid0(VALU_DEP_1) | instskip(NEXT) | instid1(VALU_DEP_1)
	v_mul_lo_u32 v7, v7, s8
	v_sub_nc_u32_e32 v9, v8, v7
	s_delay_alu instid0(VALU_DEP_1) | instskip(NEXT) | instid1(VALU_DEP_1)
	v_mad_u64_u32 v[7:8], null, v9, s15, v[0:1]
	v_mov_b32_e32 v0, v7
.LBB19_48:                              ;   in Loop: Header=BB19_9 Depth=1
	v_cvt_f32_u32_e32 v1, v1
	s_delay_alu instid0(VALU_DEP_1) | instskip(NEXT) | instid1(VALU_DEP_1)
	v_fmaak_f32 v1, 0x2f800000, v1, 0x2f800000
	v_cmp_gt_f32_e32 vcc_lo, 0x800000, v1
	v_cndmask_b32_e64 v7, 1.0, 0x4f800000, vcc_lo
	s_delay_alu instid0(VALU_DEP_1) | instskip(NEXT) | instid1(VALU_DEP_1)
	v_mul_f32_e32 v1, v1, v7
	v_log_f32_e32 v1, v1
	s_waitcnt_depctr 0xfff
	v_mul_f32_e32 v7, 0x3f317217, v1
	s_delay_alu instid0(VALU_DEP_1) | instskip(NEXT) | instid1(VALU_DEP_1)
	v_fma_f32 v8, 0x3f317217, v1, -v7
	v_fmac_f32_e32 v8, 0x3377d1cf, v1
	s_delay_alu instid0(VALU_DEP_1) | instskip(SKIP_2) | instid1(VALU_DEP_3)
	v_add_f32_e32 v7, v7, v8
	v_cndmask_b32_e64 v8, 0, 0x41b17218, vcc_lo
	v_cmp_gt_f32_e64 vcc_lo, 0x7f800000, |v1|
	v_cndmask_b32_e32 v1, v1, v7, vcc_lo
	s_delay_alu instid0(VALU_DEP_1) | instskip(NEXT) | instid1(VALU_DEP_1)
	v_sub_f32_e32 v1, v1, v8
	v_div_scale_f32 v7, null, v39, v39, v1
	s_delay_alu instid0(VALU_DEP_1) | instskip(SKIP_2) | instid1(VALU_DEP_1)
	v_rcp_f32_e32 v8, v7
	s_waitcnt_depctr 0xfff
	v_fma_f32 v9, -v7, v8, 1.0
	v_fmac_f32_e32 v8, v9, v8
	v_div_scale_f32 v9, vcc_lo, v1, v39, v1
	s_delay_alu instid0(VALU_DEP_1) | instskip(NEXT) | instid1(VALU_DEP_1)
	v_mul_f32_e32 v10, v9, v8
	v_fma_f32 v16, -v7, v10, v9
	s_delay_alu instid0(VALU_DEP_1) | instskip(NEXT) | instid1(VALU_DEP_1)
	v_fmac_f32_e32 v10, v16, v8
	v_fma_f32 v7, -v7, v10, v9
	s_delay_alu instid0(VALU_DEP_1) | instskip(NEXT) | instid1(VALU_DEP_1)
	v_div_fmas_f32 v7, v7, v8, v10
	v_div_fixup_f32 v1, v7, v39, v1
	s_delay_alu instid0(VALU_DEP_1) | instskip(NEXT) | instid1(VALU_DEP_1)
	v_ceil_f32_e32 v1, v1
	v_cvt_i32_f32_e32 v1, v1
	global_store_b16 v0, v1, s[12:13]
.LBB19_49:                              ;   in Loop: Header=BB19_9 Depth=1
	s_or_b32 exec_lo, exec_lo, s35
	v_add_co_u32 v0, vcc_lo, v13, s28
	v_add_co_ci_u32_e32 v1, vcc_lo, 0, v14, vcc_lo
	s_mov_b32 s35, exec_lo
	s_delay_alu instid0(VALU_DEP_1)
	v_cmpx_gt_i64_e64 s[16:17], v[0:1]
	s_cbranch_execz .LBB19_64
; %bb.50:                               ;   in Loop: Header=BB19_9 Depth=1
	s_and_not1_b32 vcc_lo, exec_lo, s11
	s_cbranch_vccnz .LBB19_56
; %bb.51:                               ;   in Loop: Header=BB19_9 Depth=1
	v_mov_b32_e32 v1, 0
	s_and_not1_b32 vcc_lo, exec_lo, s27
	s_cbranch_vccnz .LBB19_60
; %bb.52:                               ;   in Loop: Header=BB19_9 Depth=1
	s_and_not1_b32 vcc_lo, exec_lo, s30
	s_mov_b32 s20, 0
	s_cbranch_vccnz .LBB19_57
; %bb.53:                               ;   in Loop: Header=BB19_9 Depth=1
	v_mov_b32_e32 v1, 0
	v_mov_b32_e32 v7, v0
	s_mov_b32 s36, 0
	s_mov_b64 s[20:21], s[18:19]
	s_mov_b64 s[22:23], s[0:1]
.LBB19_54:                              ;   Parent Loop BB19_9 Depth=1
                                        ; =>  This Inner Loop Header: Depth=2
	s_clause 0x1
	s_load_b256 s[40:47], s[20:21], 0x4
	s_load_b128 s[48:51], s[20:21], 0x24
	s_load_b128 s[52:55], s[22:23], 0x0
	s_add_u32 s20, s20, 48
	s_addc_u32 s21, s21, 0
	s_add_i32 s36, s36, 4
	s_add_u32 s22, s22, 16
	s_addc_u32 s23, s23, 0
	s_cmp_eq_u32 s31, s36
	s_waitcnt lgkmcnt(0)
	v_mul_hi_u32 v8, s41, v7
	s_delay_alu instid0(VALU_DEP_1) | instskip(NEXT) | instid1(VALU_DEP_1)
	v_add_nc_u32_e32 v8, v7, v8
	v_lshrrev_b32_e32 v8, s42, v8
	s_delay_alu instid0(VALU_DEP_1) | instskip(SKIP_1) | instid1(VALU_DEP_2)
	v_mul_hi_u32 v9, s44, v8
	v_mul_lo_u32 v41, v8, s40
	v_add_nc_u32_e32 v9, v8, v9
	s_delay_alu instid0(VALU_DEP_2) | instskip(NEXT) | instid1(VALU_DEP_2)
	v_sub_nc_u32_e32 v41, v7, v41
	v_lshrrev_b32_e32 v9, s45, v9
	s_delay_alu instid0(VALU_DEP_2) | instskip(NEXT) | instid1(VALU_DEP_2)
	v_mul_lo_u32 v41, v41, s52
	v_mul_hi_u32 v10, s47, v9
	v_mul_lo_u32 v42, v9, s43
	s_delay_alu instid0(VALU_DEP_2) | instskip(NEXT) | instid1(VALU_DEP_2)
	v_add_nc_u32_e32 v10, v9, v10
	v_sub_nc_u32_e32 v8, v8, v42
	s_delay_alu instid0(VALU_DEP_2) | instskip(NEXT) | instid1(VALU_DEP_2)
	v_lshrrev_b32_e32 v10, s48, v10
	v_mul_lo_u32 v8, v8, s53
	s_delay_alu instid0(VALU_DEP_2) | instskip(NEXT) | instid1(VALU_DEP_2)
	v_mul_hi_u32 v16, s50, v10
	v_add3_u32 v1, v41, v1, v8
	s_delay_alu instid0(VALU_DEP_2) | instskip(NEXT) | instid1(VALU_DEP_1)
	v_add_nc_u32_e32 v16, v10, v16
	v_lshrrev_b32_e32 v7, s51, v16
	v_mul_lo_u32 v16, v10, s46
	s_delay_alu instid0(VALU_DEP_2) | instskip(NEXT) | instid1(VALU_DEP_2)
	v_mul_lo_u32 v43, v7, s49
	v_sub_nc_u32_e32 v9, v9, v16
	s_delay_alu instid0(VALU_DEP_2) | instskip(NEXT) | instid1(VALU_DEP_2)
	v_sub_nc_u32_e32 v10, v10, v43
	v_mul_lo_u32 v9, v9, s54
	s_delay_alu instid0(VALU_DEP_2) | instskip(NEXT) | instid1(VALU_DEP_1)
	v_mul_lo_u32 v10, v10, s55
	v_add3_u32 v1, v9, v1, v10
	s_cbranch_scc0 .LBB19_54
; %bb.55:                               ;   in Loop: Header=BB19_9 Depth=1
	s_mov_b32 s20, s31
	s_and_not1_b32 vcc_lo, exec_lo, s34
	s_cbranch_vccz .LBB19_58
	s_branch .LBB19_60
.LBB19_56:                              ;   in Loop: Header=BB19_9 Depth=1
                                        ; implicit-def: $vgpr1
	s_branch .LBB19_61
.LBB19_57:                              ;   in Loop: Header=BB19_9 Depth=1
	v_mov_b32_e32 v7, v0
	s_and_not1_b32 vcc_lo, exec_lo, s34
	s_cbranch_vccnz .LBB19_60
.LBB19_58:                              ;   in Loop: Header=BB19_9 Depth=1
	s_lshl_b32 s21, s20, 2
	s_mul_i32 s22, s20, 12
	s_add_u32 s20, s0, s21
	s_addc_u32 s21, s1, 0
	s_add_u32 s22, s18, s22
	s_addc_u32 s23, s19, 0
	s_mov_b32 s36, s29
	.p2align	6
.LBB19_59:                              ;   Parent Loop BB19_9 Depth=1
                                        ; =>  This Inner Loop Header: Depth=2
	s_clause 0x1
	s_load_b64 s[38:39], s[22:23], 0x4
	s_load_b32 s37, s[22:23], 0xc
	s_add_u32 s22, s22, 12
	s_addc_u32 s23, s23, 0
	s_waitcnt lgkmcnt(0)
	v_mul_hi_u32 v8, s39, v7
	s_load_b32 s39, s[20:21], 0x0
	s_add_u32 s20, s20, 4
	s_addc_u32 s21, s21, 0
	s_add_i32 s36, s36, -1
	s_delay_alu instid0(SALU_CYCLE_1) | instskip(NEXT) | instid1(VALU_DEP_1)
	s_cmp_lg_u32 s36, 0
	v_add_nc_u32_e32 v8, v7, v8
	s_delay_alu instid0(VALU_DEP_1) | instskip(NEXT) | instid1(VALU_DEP_1)
	v_lshrrev_b32_e32 v10, s37, v8
	v_mul_lo_u32 v8, v10, s38
	s_delay_alu instid0(VALU_DEP_1) | instskip(SKIP_1) | instid1(VALU_DEP_1)
	v_sub_nc_u32_e32 v7, v7, v8
	s_waitcnt lgkmcnt(0)
	v_mad_u64_u32 v[8:9], null, v7, s39, v[1:2]
	v_mov_b32_e32 v7, v10
	s_delay_alu instid0(VALU_DEP_2)
	v_mov_b32_e32 v1, v8
	s_cbranch_scc1 .LBB19_59
.LBB19_60:                              ;   in Loop: Header=BB19_9 Depth=1
	s_cbranch_execnz .LBB19_63
.LBB19_61:                              ;   in Loop: Header=BB19_9 Depth=1
	v_mul_hi_u32 v1, v0, s6
	s_and_not1_b32 vcc_lo, exec_lo, s4
	s_delay_alu instid0(VALU_DEP_1) | instskip(NEXT) | instid1(VALU_DEP_1)
	v_add_nc_u32_e32 v1, v1, v0
	v_lshrrev_b32_e32 v7, s7, v1
	s_delay_alu instid0(VALU_DEP_1) | instskip(NEXT) | instid1(VALU_DEP_1)
	v_mul_lo_u32 v1, v7, s5
	v_sub_nc_u32_e32 v0, v0, v1
	s_waitcnt lgkmcnt(0)
	s_delay_alu instid0(VALU_DEP_1)
	v_mul_lo_u32 v1, v0, s14
	s_cbranch_vccnz .LBB19_63
; %bb.62:                               ;   in Loop: Header=BB19_9 Depth=1
	v_mul_hi_u32 v0, s9, v7
	s_delay_alu instid0(VALU_DEP_1) | instskip(NEXT) | instid1(VALU_DEP_1)
	v_add_nc_u32_e32 v0, v7, v0
	v_lshrrev_b32_e32 v0, s10, v0
	s_delay_alu instid0(VALU_DEP_1) | instskip(NEXT) | instid1(VALU_DEP_1)
	v_mul_lo_u32 v0, v0, s8
	v_sub_nc_u32_e32 v0, v7, v0
	s_delay_alu instid0(VALU_DEP_1) | instskip(NEXT) | instid1(VALU_DEP_1)
	v_mad_u64_u32 v[7:8], null, v0, s15, v[1:2]
	v_mov_b32_e32 v1, v7
.LBB19_63:                              ;   in Loop: Header=BB19_9 Depth=1
	v_cvt_f32_u32_e32 v0, v2
	s_delay_alu instid0(VALU_DEP_1) | instskip(NEXT) | instid1(VALU_DEP_1)
	v_fmaak_f32 v0, 0x2f800000, v0, 0x2f800000
	v_cmp_gt_f32_e32 vcc_lo, 0x800000, v0
	v_cndmask_b32_e64 v2, 1.0, 0x4f800000, vcc_lo
	s_delay_alu instid0(VALU_DEP_1) | instskip(NEXT) | instid1(VALU_DEP_1)
	v_mul_f32_e32 v0, v0, v2
	v_log_f32_e32 v0, v0
	s_waitcnt_depctr 0xfff
	v_mul_f32_e32 v2, 0x3f317217, v0
	s_delay_alu instid0(VALU_DEP_1) | instskip(NEXT) | instid1(VALU_DEP_1)
	v_fma_f32 v7, 0x3f317217, v0, -v2
	v_fmac_f32_e32 v7, 0x3377d1cf, v0
	s_delay_alu instid0(VALU_DEP_1) | instskip(SKIP_2) | instid1(VALU_DEP_3)
	v_add_f32_e32 v2, v2, v7
	v_cndmask_b32_e64 v7, 0, 0x41b17218, vcc_lo
	v_cmp_gt_f32_e64 vcc_lo, 0x7f800000, |v0|
	v_cndmask_b32_e32 v0, v0, v2, vcc_lo
	s_delay_alu instid0(VALU_DEP_1) | instskip(NEXT) | instid1(VALU_DEP_1)
	v_sub_f32_e32 v0, v0, v7
	v_div_scale_f32 v2, null, v39, v39, v0
	s_delay_alu instid0(VALU_DEP_1) | instskip(SKIP_2) | instid1(VALU_DEP_1)
	v_rcp_f32_e32 v7, v2
	s_waitcnt_depctr 0xfff
	v_fma_f32 v8, -v2, v7, 1.0
	v_fmac_f32_e32 v7, v8, v7
	v_div_scale_f32 v8, vcc_lo, v0, v39, v0
	s_delay_alu instid0(VALU_DEP_1) | instskip(NEXT) | instid1(VALU_DEP_1)
	v_mul_f32_e32 v9, v8, v7
	v_fma_f32 v10, -v2, v9, v8
	s_delay_alu instid0(VALU_DEP_1) | instskip(NEXT) | instid1(VALU_DEP_1)
	v_fmac_f32_e32 v9, v10, v7
	v_fma_f32 v2, -v2, v9, v8
	s_delay_alu instid0(VALU_DEP_1) | instskip(NEXT) | instid1(VALU_DEP_1)
	v_div_fmas_f32 v2, v2, v7, v9
	v_div_fixup_f32 v0, v2, v39, v0
	s_delay_alu instid0(VALU_DEP_1) | instskip(NEXT) | instid1(VALU_DEP_1)
	v_ceil_f32_e32 v0, v0
	v_cvt_i32_f32_e32 v0, v0
	global_store_b16 v1, v0, s[12:13]
.LBB19_64:                              ;   in Loop: Header=BB19_9 Depth=1
	s_or_b32 exec_lo, exec_lo, s35
	v_add_co_u32 v0, vcc_lo, v13, s33
	v_add_co_ci_u32_e32 v1, vcc_lo, 0, v14, vcc_lo
	s_mov_b32 s35, exec_lo
	s_delay_alu instid0(VALU_DEP_1)
	v_cmpx_gt_i64_e64 s[16:17], v[0:1]
	s_cbranch_execz .LBB19_8
; %bb.65:                               ;   in Loop: Header=BB19_9 Depth=1
	s_and_not1_b32 vcc_lo, exec_lo, s11
	s_cbranch_vccnz .LBB19_71
; %bb.66:                               ;   in Loop: Header=BB19_9 Depth=1
	v_mov_b32_e32 v1, 0
	s_and_not1_b32 vcc_lo, exec_lo, s27
	s_cbranch_vccnz .LBB19_75
; %bb.67:                               ;   in Loop: Header=BB19_9 Depth=1
	s_and_not1_b32 vcc_lo, exec_lo, s30
	s_mov_b32 s20, 0
	s_cbranch_vccnz .LBB19_72
; %bb.68:                               ;   in Loop: Header=BB19_9 Depth=1
	v_dual_mov_b32 v1, 0 :: v_dual_mov_b32 v2, v0
	s_mov_b32 s36, 0
	s_mov_b64 s[20:21], s[18:19]
	s_mov_b64 s[22:23], s[0:1]
.LBB19_69:                              ;   Parent Loop BB19_9 Depth=1
                                        ; =>  This Inner Loop Header: Depth=2
	s_clause 0x1
	s_load_b256 s[40:47], s[20:21], 0x4
	s_load_b128 s[48:51], s[20:21], 0x24
	s_load_b128 s[52:55], s[22:23], 0x0
	s_add_u32 s20, s20, 48
	s_addc_u32 s21, s21, 0
	s_add_i32 s36, s36, 4
	s_add_u32 s22, s22, 16
	s_addc_u32 s23, s23, 0
	s_cmp_eq_u32 s31, s36
	s_waitcnt lgkmcnt(0)
	v_mul_hi_u32 v7, s41, v2
	s_delay_alu instid0(VALU_DEP_1) | instskip(NEXT) | instid1(VALU_DEP_1)
	v_add_nc_u32_e32 v7, v2, v7
	v_lshrrev_b32_e32 v7, s42, v7
	s_delay_alu instid0(VALU_DEP_1) | instskip(SKIP_1) | instid1(VALU_DEP_2)
	v_mul_hi_u32 v8, s44, v7
	v_mul_lo_u32 v16, v7, s40
	v_add_nc_u32_e32 v8, v7, v8
	s_delay_alu instid0(VALU_DEP_2) | instskip(NEXT) | instid1(VALU_DEP_2)
	v_sub_nc_u32_e32 v16, v2, v16
	v_lshrrev_b32_e32 v8, s45, v8
	s_delay_alu instid0(VALU_DEP_2) | instskip(NEXT) | instid1(VALU_DEP_2)
	v_mul_lo_u32 v16, v16, s52
	v_mul_hi_u32 v9, s47, v8
	v_mul_lo_u32 v41, v8, s43
	s_delay_alu instid0(VALU_DEP_2) | instskip(NEXT) | instid1(VALU_DEP_2)
	v_add_nc_u32_e32 v9, v8, v9
	v_sub_nc_u32_e32 v7, v7, v41
	s_delay_alu instid0(VALU_DEP_2) | instskip(NEXT) | instid1(VALU_DEP_2)
	v_lshrrev_b32_e32 v9, s48, v9
	v_mul_lo_u32 v7, v7, s53
	s_delay_alu instid0(VALU_DEP_2) | instskip(NEXT) | instid1(VALU_DEP_2)
	v_mul_hi_u32 v10, s50, v9
	v_add3_u32 v1, v16, v1, v7
	s_delay_alu instid0(VALU_DEP_2) | instskip(NEXT) | instid1(VALU_DEP_1)
	v_add_nc_u32_e32 v10, v9, v10
	v_lshrrev_b32_e32 v2, s51, v10
	v_mul_lo_u32 v10, v9, s46
	s_delay_alu instid0(VALU_DEP_2) | instskip(NEXT) | instid1(VALU_DEP_2)
	v_mul_lo_u32 v42, v2, s49
	v_sub_nc_u32_e32 v8, v8, v10
	s_delay_alu instid0(VALU_DEP_2) | instskip(NEXT) | instid1(VALU_DEP_2)
	v_sub_nc_u32_e32 v9, v9, v42
	v_mul_lo_u32 v8, v8, s54
	s_delay_alu instid0(VALU_DEP_2) | instskip(NEXT) | instid1(VALU_DEP_1)
	v_mul_lo_u32 v9, v9, s55
	v_add3_u32 v1, v8, v1, v9
	s_cbranch_scc0 .LBB19_69
; %bb.70:                               ;   in Loop: Header=BB19_9 Depth=1
	s_mov_b32 s20, s31
	s_and_not1_b32 vcc_lo, exec_lo, s34
	s_cbranch_vccz .LBB19_73
	s_branch .LBB19_75
.LBB19_71:                              ;   in Loop: Header=BB19_9 Depth=1
                                        ; implicit-def: $vgpr1
	s_branch .LBB19_76
.LBB19_72:                              ;   in Loop: Header=BB19_9 Depth=1
	v_mov_b32_e32 v2, v0
	s_and_not1_b32 vcc_lo, exec_lo, s34
	s_cbranch_vccnz .LBB19_75
.LBB19_73:                              ;   in Loop: Header=BB19_9 Depth=1
	s_lshl_b32 s21, s20, 2
	s_mul_i32 s22, s20, 12
	s_add_u32 s20, s0, s21
	s_addc_u32 s21, s1, 0
	s_add_u32 s22, s18, s22
	s_addc_u32 s23, s19, 0
	s_mov_b32 s36, s29
	.p2align	6
.LBB19_74:                              ;   Parent Loop BB19_9 Depth=1
                                        ; =>  This Inner Loop Header: Depth=2
	s_clause 0x1
	s_load_b64 s[38:39], s[22:23], 0x4
	s_load_b32 s37, s[22:23], 0xc
	s_add_u32 s22, s22, 12
	s_addc_u32 s23, s23, 0
	s_waitcnt lgkmcnt(0)
	v_mul_hi_u32 v7, s39, v2
	s_load_b32 s39, s[20:21], 0x0
	s_add_u32 s20, s20, 4
	s_addc_u32 s21, s21, 0
	s_add_i32 s36, s36, -1
	s_delay_alu instid0(SALU_CYCLE_1) | instskip(NEXT) | instid1(VALU_DEP_1)
	s_cmp_lg_u32 s36, 0
	v_add_nc_u32_e32 v7, v2, v7
	s_delay_alu instid0(VALU_DEP_1) | instskip(NEXT) | instid1(VALU_DEP_1)
	v_lshrrev_b32_e32 v9, s37, v7
	v_mul_lo_u32 v7, v9, s38
	s_delay_alu instid0(VALU_DEP_1) | instskip(SKIP_1) | instid1(VALU_DEP_1)
	v_sub_nc_u32_e32 v2, v2, v7
	s_waitcnt lgkmcnt(0)
	v_mad_u64_u32 v[7:8], null, v2, s39, v[1:2]
	s_delay_alu instid0(VALU_DEP_1)
	v_dual_mov_b32 v2, v9 :: v_dual_mov_b32 v1, v7
	s_cbranch_scc1 .LBB19_74
.LBB19_75:                              ;   in Loop: Header=BB19_9 Depth=1
	s_cbranch_execnz .LBB19_7
.LBB19_76:                              ;   in Loop: Header=BB19_9 Depth=1
	v_mul_hi_u32 v1, v0, s6
	s_and_not1_b32 vcc_lo, exec_lo, s4
	s_delay_alu instid0(VALU_DEP_1) | instskip(NEXT) | instid1(VALU_DEP_1)
	v_add_nc_u32_e32 v1, v1, v0
	v_lshrrev_b32_e32 v2, s7, v1
	s_delay_alu instid0(VALU_DEP_1) | instskip(NEXT) | instid1(VALU_DEP_1)
	v_mul_lo_u32 v1, v2, s5
	v_sub_nc_u32_e32 v0, v0, v1
	s_waitcnt lgkmcnt(0)
	s_delay_alu instid0(VALU_DEP_1)
	v_mul_lo_u32 v1, v0, s14
	s_cbranch_vccnz .LBB19_7
; %bb.77:                               ;   in Loop: Header=BB19_9 Depth=1
	v_mul_hi_u32 v0, s9, v2
	s_delay_alu instid0(VALU_DEP_1) | instskip(NEXT) | instid1(VALU_DEP_1)
	v_add_nc_u32_e32 v0, v2, v0
	v_lshrrev_b32_e32 v0, s10, v0
	s_delay_alu instid0(VALU_DEP_1) | instskip(NEXT) | instid1(VALU_DEP_1)
	v_mul_lo_u32 v0, v0, s8
	v_sub_nc_u32_e32 v0, v2, v0
	s_delay_alu instid0(VALU_DEP_1) | instskip(NEXT) | instid1(VALU_DEP_1)
	v_mad_u64_u32 v[7:8], null, v0, s15, v[1:2]
	v_mov_b32_e32 v1, v7
	s_branch .LBB19_7
.LBB19_78:
	s_endpgm
.LBB19_79:
                                        ; implicit-def: $sgpr2_sgpr3
	s_branch .LBB19_4
	.section	.rodata,"a",@progbits
	.p2align	6, 0x0
	.amdhsa_kernel _ZN2at6native12_GLOBAL__N_143distribution_elementwise_grid_stride_kernelIfLi4EZNS0_9templates4cuda21uniform_and_transformIsfPNS_17CUDAGeneratorImplEZZZNS4_16geometric_kernelIS7_EEvRNS_18TensorIteratorBaseEdT_ENKUlvE_clEvENKUlvE3_clEvEUlfE_EEvSA_T1_T2_EUlP25hiprandStatePhilox4_32_10E0_ZNS1_27distribution_nullary_kernelIsf15HIP_vector_typeIfLj4EES7_SJ_SE_EEvSA_SG_RKT3_T4_EUlifE0_EEvlNS_15PhiloxCudaStateESF_SG_
		.amdhsa_group_segment_fixed_size 0
		.amdhsa_private_segment_fixed_size 0
		.amdhsa_kernarg_size 584
		.amdhsa_user_sgpr_count 15
		.amdhsa_user_sgpr_dispatch_ptr 0
		.amdhsa_user_sgpr_queue_ptr 0
		.amdhsa_user_sgpr_kernarg_segment_ptr 1
		.amdhsa_user_sgpr_dispatch_id 0
		.amdhsa_user_sgpr_private_segment_size 0
		.amdhsa_wavefront_size32 1
		.amdhsa_uses_dynamic_stack 0
		.amdhsa_enable_private_segment 0
		.amdhsa_system_sgpr_workgroup_id_x 1
		.amdhsa_system_sgpr_workgroup_id_y 0
		.amdhsa_system_sgpr_workgroup_id_z 0
		.amdhsa_system_sgpr_workgroup_info 0
		.amdhsa_system_vgpr_workitem_id 0
		.amdhsa_next_free_vgpr 45
		.amdhsa_next_free_sgpr 56
		.amdhsa_reserve_vcc 1
		.amdhsa_float_round_mode_32 0
		.amdhsa_float_round_mode_16_64 0
		.amdhsa_float_denorm_mode_32 3
		.amdhsa_float_denorm_mode_16_64 3
		.amdhsa_dx10_clamp 1
		.amdhsa_ieee_mode 1
		.amdhsa_fp16_overflow 0
		.amdhsa_workgroup_processor_mode 1
		.amdhsa_memory_ordered 1
		.amdhsa_forward_progress 0
		.amdhsa_shared_vgpr_count 0
		.amdhsa_exception_fp_ieee_invalid_op 0
		.amdhsa_exception_fp_denorm_src 0
		.amdhsa_exception_fp_ieee_div_zero 0
		.amdhsa_exception_fp_ieee_overflow 0
		.amdhsa_exception_fp_ieee_underflow 0
		.amdhsa_exception_fp_ieee_inexact 0
		.amdhsa_exception_int_div_zero 0
	.end_amdhsa_kernel
	.section	.text._ZN2at6native12_GLOBAL__N_143distribution_elementwise_grid_stride_kernelIfLi4EZNS0_9templates4cuda21uniform_and_transformIsfPNS_17CUDAGeneratorImplEZZZNS4_16geometric_kernelIS7_EEvRNS_18TensorIteratorBaseEdT_ENKUlvE_clEvENKUlvE3_clEvEUlfE_EEvSA_T1_T2_EUlP25hiprandStatePhilox4_32_10E0_ZNS1_27distribution_nullary_kernelIsf15HIP_vector_typeIfLj4EES7_SJ_SE_EEvSA_SG_RKT3_T4_EUlifE0_EEvlNS_15PhiloxCudaStateESF_SG_,"axG",@progbits,_ZN2at6native12_GLOBAL__N_143distribution_elementwise_grid_stride_kernelIfLi4EZNS0_9templates4cuda21uniform_and_transformIsfPNS_17CUDAGeneratorImplEZZZNS4_16geometric_kernelIS7_EEvRNS_18TensorIteratorBaseEdT_ENKUlvE_clEvENKUlvE3_clEvEUlfE_EEvSA_T1_T2_EUlP25hiprandStatePhilox4_32_10E0_ZNS1_27distribution_nullary_kernelIsf15HIP_vector_typeIfLj4EES7_SJ_SE_EEvSA_SG_RKT3_T4_EUlifE0_EEvlNS_15PhiloxCudaStateESF_SG_,comdat
.Lfunc_end19:
	.size	_ZN2at6native12_GLOBAL__N_143distribution_elementwise_grid_stride_kernelIfLi4EZNS0_9templates4cuda21uniform_and_transformIsfPNS_17CUDAGeneratorImplEZZZNS4_16geometric_kernelIS7_EEvRNS_18TensorIteratorBaseEdT_ENKUlvE_clEvENKUlvE3_clEvEUlfE_EEvSA_T1_T2_EUlP25hiprandStatePhilox4_32_10E0_ZNS1_27distribution_nullary_kernelIsf15HIP_vector_typeIfLj4EES7_SJ_SE_EEvSA_SG_RKT3_T4_EUlifE0_EEvlNS_15PhiloxCudaStateESF_SG_, .Lfunc_end19-_ZN2at6native12_GLOBAL__N_143distribution_elementwise_grid_stride_kernelIfLi4EZNS0_9templates4cuda21uniform_and_transformIsfPNS_17CUDAGeneratorImplEZZZNS4_16geometric_kernelIS7_EEvRNS_18TensorIteratorBaseEdT_ENKUlvE_clEvENKUlvE3_clEvEUlfE_EEvSA_T1_T2_EUlP25hiprandStatePhilox4_32_10E0_ZNS1_27distribution_nullary_kernelIsf15HIP_vector_typeIfLj4EES7_SJ_SE_EEvSA_SG_RKT3_T4_EUlifE0_EEvlNS_15PhiloxCudaStateESF_SG_
                                        ; -- End function
	.section	.AMDGPU.csdata,"",@progbits
; Kernel info:
; codeLenInByte = 6756
; NumSgprs: 58
; NumVgprs: 45
; ScratchSize: 0
; MemoryBound: 0
; FloatMode: 240
; IeeeMode: 1
; LDSByteSize: 0 bytes/workgroup (compile time only)
; SGPRBlocks: 7
; VGPRBlocks: 5
; NumSGPRsForWavesPerEU: 58
; NumVGPRsForWavesPerEU: 45
; Occupancy: 16
; WaveLimiterHint : 1
; COMPUTE_PGM_RSRC2:SCRATCH_EN: 0
; COMPUTE_PGM_RSRC2:USER_SGPR: 15
; COMPUTE_PGM_RSRC2:TRAP_HANDLER: 0
; COMPUTE_PGM_RSRC2:TGID_X_EN: 1
; COMPUTE_PGM_RSRC2:TGID_Y_EN: 0
; COMPUTE_PGM_RSRC2:TGID_Z_EN: 0
; COMPUTE_PGM_RSRC2:TIDIG_COMP_CNT: 0
	.section	.text._ZN2at6native12_GLOBAL__N_143distribution_elementwise_grid_stride_kernelIdLi2EZNS0_9templates4cuda21uniform_and_transformIddPNS_17CUDAGeneratorImplEZZZNS4_16geometric_kernelIS7_EEvRNS_18TensorIteratorBaseEdT_ENKUlvE_clEvENKUlvE4_clEvEUldE_EEvSA_T1_T2_EUlP25hiprandStatePhilox4_32_10E_ZNS1_27distribution_nullary_kernelIdd15HIP_vector_typeIdLj2EES7_SJ_SE_EEvSA_SG_RKT3_T4_EUlidE_EEvlNS_15PhiloxCudaStateESF_SG_,"axG",@progbits,_ZN2at6native12_GLOBAL__N_143distribution_elementwise_grid_stride_kernelIdLi2EZNS0_9templates4cuda21uniform_and_transformIddPNS_17CUDAGeneratorImplEZZZNS4_16geometric_kernelIS7_EEvRNS_18TensorIteratorBaseEdT_ENKUlvE_clEvENKUlvE4_clEvEUldE_EEvSA_T1_T2_EUlP25hiprandStatePhilox4_32_10E_ZNS1_27distribution_nullary_kernelIdd15HIP_vector_typeIdLj2EES7_SJ_SE_EEvSA_SG_RKT3_T4_EUlidE_EEvlNS_15PhiloxCudaStateESF_SG_,comdat
	.globl	_ZN2at6native12_GLOBAL__N_143distribution_elementwise_grid_stride_kernelIdLi2EZNS0_9templates4cuda21uniform_and_transformIddPNS_17CUDAGeneratorImplEZZZNS4_16geometric_kernelIS7_EEvRNS_18TensorIteratorBaseEdT_ENKUlvE_clEvENKUlvE4_clEvEUldE_EEvSA_T1_T2_EUlP25hiprandStatePhilox4_32_10E_ZNS1_27distribution_nullary_kernelIdd15HIP_vector_typeIdLj2EES7_SJ_SE_EEvSA_SG_RKT3_T4_EUlidE_EEvlNS_15PhiloxCudaStateESF_SG_ ; -- Begin function _ZN2at6native12_GLOBAL__N_143distribution_elementwise_grid_stride_kernelIdLi2EZNS0_9templates4cuda21uniform_and_transformIddPNS_17CUDAGeneratorImplEZZZNS4_16geometric_kernelIS7_EEvRNS_18TensorIteratorBaseEdT_ENKUlvE_clEvENKUlvE4_clEvEUldE_EEvSA_T1_T2_EUlP25hiprandStatePhilox4_32_10E_ZNS1_27distribution_nullary_kernelIdd15HIP_vector_typeIdLj2EES7_SJ_SE_EEvSA_SG_RKT3_T4_EUlidE_EEvlNS_15PhiloxCudaStateESF_SG_
	.p2align	8
	.type	_ZN2at6native12_GLOBAL__N_143distribution_elementwise_grid_stride_kernelIdLi2EZNS0_9templates4cuda21uniform_and_transformIddPNS_17CUDAGeneratorImplEZZZNS4_16geometric_kernelIS7_EEvRNS_18TensorIteratorBaseEdT_ENKUlvE_clEvENKUlvE4_clEvEUldE_EEvSA_T1_T2_EUlP25hiprandStatePhilox4_32_10E_ZNS1_27distribution_nullary_kernelIdd15HIP_vector_typeIdLj2EES7_SJ_SE_EEvSA_SG_RKT3_T4_EUlidE_EEvlNS_15PhiloxCudaStateESF_SG_,@function
_ZN2at6native12_GLOBAL__N_143distribution_elementwise_grid_stride_kernelIdLi2EZNS0_9templates4cuda21uniform_and_transformIddPNS_17CUDAGeneratorImplEZZZNS4_16geometric_kernelIS7_EEvRNS_18TensorIteratorBaseEdT_ENKUlvE_clEvENKUlvE4_clEvEUldE_EEvSA_T1_T2_EUlP25hiprandStatePhilox4_32_10E_ZNS1_27distribution_nullary_kernelIdd15HIP_vector_typeIdLj2EES7_SJ_SE_EEvSA_SG_RKT3_T4_EUlidE_EEvlNS_15PhiloxCudaStateESF_SG_: ; @_ZN2at6native12_GLOBAL__N_143distribution_elementwise_grid_stride_kernelIdLi2EZNS0_9templates4cuda21uniform_and_transformIddPNS_17CUDAGeneratorImplEZZZNS4_16geometric_kernelIS7_EEvRNS_18TensorIteratorBaseEdT_ENKUlvE_clEvENKUlvE4_clEvEUldE_EEvSA_T1_T2_EUlP25hiprandStatePhilox4_32_10E_ZNS1_27distribution_nullary_kernelIdd15HIP_vector_typeIdLj2EES7_SJ_SE_EEvSA_SG_RKT3_T4_EUlidE_EEvlNS_15PhiloxCudaStateESF_SG_
; %bb.0:
	s_clause 0x2
	s_load_b64 s[8:9], s[0:1], 0x10
	s_load_b128 s[4:7], s[0:1], 0x0
	s_load_b32 s2, s[0:1], 0x20
	s_waitcnt lgkmcnt(0)
	v_dual_mov_b32 v2, s8 :: v_dual_mov_b32 v3, s9
	v_dual_mov_b32 v9, s7 :: v_dual_mov_b32 v8, s6
	s_bitcmp0_b32 s2, 0
	s_mov_b32 s2, 0
	s_cbranch_scc1 .LBB20_2
; %bb.1:
	v_dual_mov_b32 v1, s8 :: v_dual_mov_b32 v2, s9
	v_dual_mov_b32 v4, s6 :: v_dual_mov_b32 v5, s7
	s_load_b64 s[6:7], s[0:1], 0x18
	flat_load_b64 v[2:3], v[1:2]
	flat_load_b64 v[8:9], v[4:5]
	s_waitcnt vmcnt(1) lgkmcnt(0)
	v_add_co_u32 v2, vcc_lo, v2, s6
	v_add_co_ci_u32_e32 v3, vcc_lo, s7, v3, vcc_lo
.LBB20_2:
	s_clause 0x1
	s_load_b32 s3, s[0:1], 0x54
	s_load_b32 s33, s[0:1], 0x48
	s_waitcnt lgkmcnt(0)
	s_and_b32 s31, s3, 0xffff
	s_add_u32 s6, s4, -1
	s_mul_i32 s14, s33, s31
	s_addc_u32 s3, s5, -1
	s_lshl_b32 s30, s14, 1
	s_cmp_lg_u64 s[2:3], 0
	s_cbranch_scc0 .LBB20_23
; %bb.3:
	v_cvt_f32_ubyte0_e32 v1, 0
	v_cvt_f32_u32_e32 v4, s30
	s_sub_u32 s8, 0, s30
	s_subb_u32 s9, 0, 0
	s_delay_alu instid0(VALU_DEP_1) | instskip(NEXT) | instid1(VALU_DEP_1)
	v_fmamk_f32 v1, v1, 0x4f800000, v4
	v_rcp_f32_e32 v1, v1
	s_waitcnt_depctr 0xfff
	v_mul_f32_e32 v1, 0x5f7ffffc, v1
	s_delay_alu instid0(VALU_DEP_1) | instskip(NEXT) | instid1(VALU_DEP_1)
	v_mul_f32_e32 v4, 0x2f800000, v1
	v_trunc_f32_e32 v4, v4
	s_delay_alu instid0(VALU_DEP_1) | instskip(SKIP_1) | instid1(VALU_DEP_2)
	v_fmamk_f32 v1, v4, 0xcf800000, v1
	v_cvt_u32_f32_e32 v4, v4
	v_cvt_u32_f32_e32 v1, v1
	s_delay_alu instid0(VALU_DEP_2) | instskip(NEXT) | instid1(VALU_DEP_2)
	v_readfirstlane_b32 s2, v4
	v_readfirstlane_b32 s7, v1
	s_delay_alu instid0(VALU_DEP_2) | instskip(NEXT) | instid1(VALU_DEP_1)
	s_mul_i32 s10, s8, s2
	s_mul_hi_u32 s12, s8, s7
	s_mul_i32 s11, s9, s7
	s_add_i32 s10, s12, s10
	s_mul_i32 s13, s8, s7
	s_add_i32 s10, s10, s11
	s_mul_hi_u32 s12, s7, s13
	s_mul_hi_u32 s16, s2, s13
	s_mul_i32 s11, s2, s13
	s_mul_hi_u32 s13, s7, s10
	s_mul_i32 s7, s7, s10
	s_mul_hi_u32 s17, s2, s10
	s_add_u32 s7, s12, s7
	s_addc_u32 s12, 0, s13
	s_add_u32 s7, s7, s11
	s_mul_i32 s10, s2, s10
	s_addc_u32 s7, s12, s16
	s_addc_u32 s11, s17, 0
	s_add_u32 s7, s7, s10
	s_addc_u32 s10, 0, s11
	v_add_co_u32 v1, s7, v1, s7
	s_delay_alu instid0(VALU_DEP_1) | instskip(SKIP_1) | instid1(VALU_DEP_1)
	s_cmp_lg_u32 s7, 0
	s_addc_u32 s2, s2, s10
	v_readfirstlane_b32 s7, v1
	s_mul_i32 s10, s8, s2
	s_delay_alu instid0(VALU_DEP_1)
	s_mul_hi_u32 s11, s8, s7
	s_mul_i32 s9, s9, s7
	s_add_i32 s10, s11, s10
	s_mul_i32 s8, s8, s7
	s_add_i32 s10, s10, s9
	s_mul_hi_u32 s11, s2, s8
	s_mul_i32 s12, s2, s8
	s_mul_hi_u32 s8, s7, s8
	s_mul_hi_u32 s13, s7, s10
	s_mul_i32 s7, s7, s10
	s_mul_hi_u32 s9, s2, s10
	s_add_u32 s7, s8, s7
	s_addc_u32 s8, 0, s13
	s_add_u32 s7, s7, s12
	s_mul_i32 s10, s2, s10
	s_addc_u32 s7, s8, s11
	s_addc_u32 s8, s9, 0
	s_add_u32 s7, s7, s10
	s_addc_u32 s8, 0, s8
	v_add_co_u32 v1, s7, v1, s7
	s_delay_alu instid0(VALU_DEP_1) | instskip(SKIP_2) | instid1(VALU_DEP_1)
	s_cmp_lg_u32 s7, 0
	s_addc_u32 s7, s2, s8
	s_ashr_i32 s8, s3, 31
	v_readfirstlane_b32 s10, v1
	s_add_u32 s2, s6, s8
	s_mov_b32 s9, s8
	s_addc_u32 s3, s3, s8
	s_delay_alu instid0(SALU_CYCLE_1) | instskip(NEXT) | instid1(SALU_CYCLE_1)
	s_xor_b64 s[2:3], s[2:3], s[8:9]
	s_mul_i32 s12, s2, s7
	s_mul_hi_u32 s13, s2, s10
	s_mul_hi_u32 s11, s2, s7
	;; [unrolled: 1-line block ×3, first 2 shown]
	s_mul_i32 s10, s3, s10
	s_add_u32 s12, s13, s12
	s_addc_u32 s11, 0, s11
	s_mul_hi_u32 s16, s3, s7
	s_add_u32 s10, s12, s10
	s_mul_i32 s7, s3, s7
	s_addc_u32 s10, s11, s17
	s_addc_u32 s11, s16, 0
	s_add_u32 s7, s10, s7
	s_addc_u32 s10, 0, s11
	s_mul_i32 s12, s30, s7
	s_add_u32 s11, s7, 1
	v_sub_co_u32 v1, s2, s2, s12
	s_mul_hi_u32 s12, s30, s7
	s_addc_u32 s13, s10, 0
	s_mul_i32 s16, s30, s10
	s_delay_alu instid0(VALU_DEP_1)
	v_sub_co_u32 v4, s17, v1, s30
	s_add_u32 s18, s7, 2
	s_addc_u32 s19, s10, 0
	s_add_i32 s12, s12, s16
	s_cmp_lg_u32 s2, 0
	v_readfirstlane_b32 s2, v4
	s_subb_u32 s3, s3, s12
	s_cmp_lg_u32 s17, 0
	s_subb_u32 s12, s3, 0
	s_delay_alu instid0(VALU_DEP_1) | instskip(SKIP_4) | instid1(SALU_CYCLE_1)
	s_cmp_ge_u32 s2, s30
	s_cselect_b32 s2, -1, 0
	s_cmp_eq_u32 s12, 0
	v_readfirstlane_b32 s12, v1
	s_cselect_b32 s2, s2, -1
	s_cmp_lg_u32 s2, 0
	s_cselect_b32 s2, s18, s11
	s_cselect_b32 s11, s19, s13
	s_cmp_ge_u32 s12, s30
	s_cselect_b32 s12, -1, 0
	s_cmp_eq_u32 s3, 0
	s_cselect_b32 s3, s12, -1
	s_delay_alu instid0(SALU_CYCLE_1) | instskip(SKIP_2) | instid1(SALU_CYCLE_1)
	s_cmp_lg_u32 s3, 0
	s_cselect_b32 s3, s11, s10
	s_cselect_b32 s2, s2, s7
	s_xor_b64 s[2:3], s[2:3], s[8:9]
	s_delay_alu instid0(SALU_CYCLE_1)
	s_sub_u32 s2, s2, s8
	s_subb_u32 s3, s3, s8
	s_cbranch_execnz .LBB20_5
.LBB20_4:
	v_cvt_f32_u32_e32 v1, s30
	s_sub_i32 s3, 0, s30
	s_delay_alu instid0(VALU_DEP_1) | instskip(SKIP_2) | instid1(VALU_DEP_1)
	v_rcp_iflag_f32_e32 v1, v1
	s_waitcnt_depctr 0xfff
	v_mul_f32_e32 v1, 0x4f7ffffe, v1
	v_cvt_u32_f32_e32 v1, v1
	s_delay_alu instid0(VALU_DEP_1) | instskip(NEXT) | instid1(VALU_DEP_1)
	v_readfirstlane_b32 s2, v1
	s_mul_i32 s3, s3, s2
	s_delay_alu instid0(SALU_CYCLE_1) | instskip(NEXT) | instid1(SALU_CYCLE_1)
	s_mul_hi_u32 s3, s2, s3
	s_add_i32 s2, s2, s3
	s_delay_alu instid0(SALU_CYCLE_1) | instskip(NEXT) | instid1(SALU_CYCLE_1)
	s_mul_hi_u32 s2, s6, s2
	s_mul_i32 s3, s2, s30
	s_delay_alu instid0(SALU_CYCLE_1)
	s_sub_i32 s3, s6, s3
	s_add_i32 s6, s2, 1
	s_sub_i32 s7, s3, s30
	s_cmp_ge_u32 s3, s30
	s_cselect_b32 s2, s6, s2
	s_cselect_b32 s3, s7, s3
	s_add_i32 s6, s2, 1
	s_cmp_ge_u32 s3, s30
	s_mov_b32 s3, 0
	s_cselect_b32 s2, s6, s2
.LBB20_5:
	v_mov_b32_e32 v10, 0
	s_add_u32 s2, s2, 1
	s_addc_u32 s3, s3, 0
	s_mul_hi_u32 s6, s33, s31
	s_mul_hi_u32 s7, s14, s2
	v_mov_b32_e32 v1, v10
	s_mul_i32 s3, s14, s3
	s_mul_i32 s6, s6, s2
	s_add_i32 s3, s7, s3
	s_mul_i32 s2, s14, s2
	v_mad_u64_u32 v[12:13], null, s31, s15, v[0:1]
	s_add_i32 s3, s3, s6
	s_mov_b32 s6, exec_lo
	s_lshl_b64 s[2:3], s[2:3], 1
	s_delay_alu instid0(VALU_DEP_1) | instid1(SALU_CYCLE_1)
	v_cmpx_gt_i64_e64 s[2:3], v[12:13]
	s_cbranch_execz .LBB20_22
; %bb.6:
	s_clause 0x1
	s_load_b64 s[28:29], s[0:1], 0x40
	s_load_b32 s34, s[0:1], 0x38
	s_mov_b32 s6, 0x55555555
	s_mov_b32 s7, 0x3fe55555
	;; [unrolled: 1-line block ×18, first 2 shown]
	s_waitcnt lgkmcnt(0)
	v_add_f64 v[4:5], -s[28:29], 1.0
	s_mov_b32 s26, 0x3b39803f
	s_mov_b32 s27, 0x3c7abc9e
	s_waitcnt vmcnt(0)
	v_add_co_u32 v37, null, 0xf1bbcdc8, v8
	s_load_b64 s[0:1], s[0:1], 0x30
	v_dual_mov_b32 v39, v12 :: v_dual_and_b32 v32, 3, v2
	s_delay_alu instid0(VALU_DEP_3) | instskip(SKIP_2) | instid1(VALU_DEP_3)
	v_frexp_mant_f64_e32 v[6:7], v[4:5]
	v_frexp_exp_i32_f64_e32 v1, v[4:5]
	v_add_f64 v[14:15], v[4:5], -1.0
	v_cmp_gt_f64_e32 vcc_lo, s[6:7], v[6:7]
	s_delay_alu instid0(VALU_DEP_2) | instskip(SKIP_2) | instid1(VALU_DEP_3)
	v_add_f64 v[6:7], v[14:15], -v[4:5]
	v_add_f64 v[14:15], -s[28:29], -v[14:15]
	v_subrev_co_ci_u32_e32 v1, vcc_lo, 0, v1, vcc_lo
	v_add_f64 v[6:7], v[6:7], 1.0
	v_cmp_ngt_f64_e64 vcc_lo, s[28:29], 1.0
	s_delay_alu instid0(VALU_DEP_3) | instskip(NEXT) | instid1(VALU_DEP_1)
	v_sub_nc_u32_e32 v11, 0, v1
	v_ldexp_f64 v[4:5], v[4:5], v11
	s_delay_alu instid0(VALU_DEP_4) | instskip(NEXT) | instid1(VALU_DEP_2)
	v_add_f64 v[6:7], v[14:15], v[6:7]
	v_add_f64 v[16:17], v[4:5], 1.0
	v_add_f64 v[22:23], v[4:5], -1.0
	s_delay_alu instid0(VALU_DEP_3) | instskip(SKIP_1) | instid1(VALU_DEP_1)
	v_ldexp_f64 v[6:7], v[6:7], v11
	v_mov_b32_e32 v11, v9
	v_add_co_u32 v38, null, 0xdb3d7428, v11
	v_add_f64 v[14:15], v[16:17], -1.0
	v_add_f64 v[24:25], v[22:23], 1.0
	s_delay_alu instid0(VALU_DEP_2) | instskip(NEXT) | instid1(VALU_DEP_2)
	v_add_f64 v[14:15], v[4:5], -v[14:15]
	v_add_f64 v[4:5], v[4:5], -v[24:25]
	s_delay_alu instid0(VALU_DEP_2) | instskip(NEXT) | instid1(VALU_DEP_2)
	v_add_f64 v[14:15], v[6:7], v[14:15]
	v_add_f64 v[4:5], v[6:7], v[4:5]
	s_delay_alu instid0(VALU_DEP_2) | instskip(NEXT) | instid1(VALU_DEP_2)
	v_add_f64 v[18:19], v[16:17], v[14:15]
	v_add_f64 v[24:25], v[22:23], v[4:5]
	s_delay_alu instid0(VALU_DEP_2) | instskip(SKIP_1) | instid1(VALU_DEP_2)
	v_rcp_f64_e32 v[20:21], v[18:19]
	v_add_f64 v[16:17], v[18:19], -v[16:17]
	v_add_f64 v[22:23], v[24:25], -v[22:23]
	s_delay_alu instid0(VALU_DEP_2) | instskip(SKIP_3) | instid1(VALU_DEP_2)
	v_add_f64 v[14:15], v[14:15], -v[16:17]
	s_waitcnt_depctr 0xfff
	v_fma_f64 v[26:27], -v[18:19], v[20:21], 1.0
	v_add_f64 v[4:5], v[4:5], -v[22:23]
	v_fma_f64 v[20:21], v[26:27], v[20:21], v[20:21]
	s_delay_alu instid0(VALU_DEP_1) | instskip(NEXT) | instid1(VALU_DEP_1)
	v_fma_f64 v[6:7], -v[18:19], v[20:21], 1.0
	v_fma_f64 v[6:7], v[6:7], v[20:21], v[20:21]
	s_delay_alu instid0(VALU_DEP_1) | instskip(NEXT) | instid1(VALU_DEP_1)
	v_mul_f64 v[20:21], v[24:25], v[6:7]
	v_mul_f64 v[26:27], v[18:19], v[20:21]
	s_delay_alu instid0(VALU_DEP_1) | instskip(NEXT) | instid1(VALU_DEP_1)
	v_fma_f64 v[16:17], v[20:21], v[18:19], -v[26:27]
	v_fma_f64 v[16:17], v[20:21], v[14:15], v[16:17]
	s_delay_alu instid0(VALU_DEP_1) | instskip(NEXT) | instid1(VALU_DEP_1)
	v_add_f64 v[28:29], v[26:27], v[16:17]
	v_add_f64 v[30:31], v[24:25], -v[28:29]
	v_add_f64 v[22:23], v[28:29], -v[26:27]
	s_delay_alu instid0(VALU_DEP_2) | instskip(NEXT) | instid1(VALU_DEP_2)
	v_add_f64 v[24:25], v[24:25], -v[30:31]
	v_add_f64 v[16:17], v[22:23], -v[16:17]
	s_delay_alu instid0(VALU_DEP_2) | instskip(NEXT) | instid1(VALU_DEP_1)
	v_add_f64 v[24:25], v[24:25], -v[28:29]
	v_add_f64 v[4:5], v[4:5], v[24:25]
	s_delay_alu instid0(VALU_DEP_1) | instskip(NEXT) | instid1(VALU_DEP_1)
	v_add_f64 v[4:5], v[16:17], v[4:5]
	v_add_f64 v[16:17], v[30:31], v[4:5]
	s_delay_alu instid0(VALU_DEP_1) | instskip(SKIP_1) | instid1(VALU_DEP_2)
	v_mul_f64 v[22:23], v[6:7], v[16:17]
	v_add_f64 v[28:29], v[30:31], -v[16:17]
	v_mul_f64 v[24:25], v[18:19], v[22:23]
	s_delay_alu instid0(VALU_DEP_2) | instskip(NEXT) | instid1(VALU_DEP_2)
	v_add_f64 v[4:5], v[4:5], v[28:29]
	v_fma_f64 v[18:19], v[22:23], v[18:19], -v[24:25]
	s_delay_alu instid0(VALU_DEP_1) | instskip(NEXT) | instid1(VALU_DEP_1)
	v_fma_f64 v[14:15], v[22:23], v[14:15], v[18:19]
	v_add_f64 v[18:19], v[24:25], v[14:15]
	s_delay_alu instid0(VALU_DEP_1) | instskip(SKIP_1) | instid1(VALU_DEP_2)
	v_add_f64 v[26:27], v[16:17], -v[18:19]
	v_add_f64 v[24:25], v[18:19], -v[24:25]
	v_add_f64 v[16:17], v[16:17], -v[26:27]
	s_delay_alu instid0(VALU_DEP_2) | instskip(NEXT) | instid1(VALU_DEP_2)
	v_add_f64 v[14:15], v[24:25], -v[14:15]
	v_add_f64 v[16:17], v[16:17], -v[18:19]
	s_delay_alu instid0(VALU_DEP_1) | instskip(SKIP_1) | instid1(VALU_DEP_2)
	v_add_f64 v[4:5], v[4:5], v[16:17]
	v_add_f64 v[16:17], v[20:21], v[22:23]
	;; [unrolled: 1-line block ×3, first 2 shown]
	s_delay_alu instid0(VALU_DEP_2) | instskip(NEXT) | instid1(VALU_DEP_2)
	v_add_f64 v[14:15], v[16:17], -v[20:21]
	v_add_f64 v[4:5], v[26:27], v[4:5]
	s_delay_alu instid0(VALU_DEP_2) | instskip(NEXT) | instid1(VALU_DEP_2)
	v_add_f64 v[14:15], v[22:23], -v[14:15]
	v_mul_f64 v[4:5], v[6:7], v[4:5]
	s_delay_alu instid0(VALU_DEP_1) | instskip(NEXT) | instid1(VALU_DEP_1)
	v_add_f64 v[4:5], v[14:15], v[4:5]
	v_add_f64 v[6:7], v[16:17], v[4:5]
	s_delay_alu instid0(VALU_DEP_1) | instskip(NEXT) | instid1(VALU_DEP_1)
	v_mul_f64 v[14:15], v[6:7], v[6:7]
	v_fma_f64 v[18:19], v[14:15], s[10:11], s[8:9]
	v_mul_f64 v[20:21], v[6:7], v[14:15]
	s_delay_alu instid0(VALU_DEP_2) | instskip(NEXT) | instid1(VALU_DEP_1)
	v_fma_f64 v[18:19], v[14:15], v[18:19], s[12:13]
	v_fma_f64 v[18:19], v[14:15], v[18:19], s[16:17]
	s_delay_alu instid0(VALU_DEP_1) | instskip(NEXT) | instid1(VALU_DEP_1)
	v_fma_f64 v[18:19], v[14:15], v[18:19], s[18:19]
	v_fma_f64 v[18:19], v[14:15], v[18:19], s[20:21]
	s_delay_alu instid0(VALU_DEP_1) | instskip(SKIP_3) | instid1(VALU_DEP_4)
	v_fma_f64 v[14:15], v[14:15], v[18:19], s[22:23]
	v_ldexp_f64 v[18:19], v[6:7], 1
	v_add_f64 v[6:7], v[6:7], -v[16:17]
	v_cmp_eq_f64_e64 s23, 0xfff00000, s[28:29]
	v_mul_f64 v[14:15], v[20:21], v[14:15]
	v_cvt_f64_i32_e32 v[20:21], v1
	s_delay_alu instid0(VALU_DEP_4) | instskip(NEXT) | instid1(VALU_DEP_3)
	v_add_f64 v[4:5], v[4:5], -v[6:7]
	v_add_f64 v[16:17], v[18:19], v[14:15]
	s_delay_alu instid0(VALU_DEP_3) | instskip(NEXT) | instid1(VALU_DEP_3)
	v_mul_f64 v[22:23], v[20:21], s[24:25]
	v_ldexp_f64 v[4:5], v[4:5], 1
	s_delay_alu instid0(VALU_DEP_3) | instskip(NEXT) | instid1(VALU_DEP_3)
	v_add_f64 v[6:7], v[16:17], -v[18:19]
	v_fma_f64 v[18:19], v[20:21], s[24:25], -v[22:23]
	s_delay_alu instid0(VALU_DEP_2) | instskip(NEXT) | instid1(VALU_DEP_2)
	v_add_f64 v[6:7], v[14:15], -v[6:7]
	v_fma_f64 v[14:15], v[20:21], s[26:27], v[18:19]
	s_delay_alu instid0(VALU_DEP_2) | instskip(NEXT) | instid1(VALU_DEP_2)
	v_add_f64 v[4:5], v[4:5], v[6:7]
	v_add_f64 v[6:7], v[22:23], v[14:15]
	s_delay_alu instid0(VALU_DEP_2) | instskip(NEXT) | instid1(VALU_DEP_2)
	v_add_f64 v[18:19], v[16:17], v[4:5]
	v_add_f64 v[22:23], v[6:7], -v[22:23]
	s_delay_alu instid0(VALU_DEP_2) | instskip(SKIP_1) | instid1(VALU_DEP_3)
	v_add_f64 v[20:21], v[6:7], v[18:19]
	v_add_f64 v[16:17], v[18:19], -v[16:17]
	v_add_f64 v[14:15], v[14:15], -v[22:23]
	s_delay_alu instid0(VALU_DEP_3) | instskip(NEXT) | instid1(VALU_DEP_3)
	v_add_f64 v[24:25], v[20:21], -v[6:7]
	v_add_f64 v[4:5], v[4:5], -v[16:17]
	s_delay_alu instid0(VALU_DEP_2) | instskip(SKIP_1) | instid1(VALU_DEP_3)
	v_add_f64 v[26:27], v[20:21], -v[24:25]
	v_add_f64 v[16:17], v[18:19], -v[24:25]
	v_add_f64 v[18:19], v[14:15], v[4:5]
	v_mad_u64_u32 v[24:25], null, 0xcd9e8d57, v12, 0
	s_delay_alu instid0(VALU_DEP_4) | instskip(NEXT) | instid1(VALU_DEP_1)
	v_add_f64 v[6:7], v[6:7], -v[26:27]
	v_add_f64 v[6:7], v[16:17], v[6:7]
	s_delay_alu instid0(VALU_DEP_4) | instskip(NEXT) | instid1(VALU_DEP_2)
	v_add_f64 v[16:17], v[18:19], -v[14:15]
	v_add_f64 v[6:7], v[18:19], v[6:7]
	s_delay_alu instid0(VALU_DEP_2) | instskip(SKIP_1) | instid1(VALU_DEP_3)
	v_add_f64 v[18:19], v[18:19], -v[16:17]
	v_add_f64 v[4:5], v[4:5], -v[16:17]
	v_add_f64 v[33:34], v[20:21], v[6:7]
	s_delay_alu instid0(VALU_DEP_3) | instskip(SKIP_2) | instid1(VALU_DEP_2)
	v_add_f64 v[14:15], v[14:15], -v[18:19]
	v_lshrrev_b32_e32 v19, 2, v3
	v_alignbit_b32 v18, v3, v2, 2
	v_xor3_b32 v3, v8, v25, v19
	s_delay_alu instid0(VALU_DEP_2) | instskip(NEXT) | instid1(VALU_DEP_2)
	v_mad_u64_u32 v[22:23], null, 0xd2511f53, v18, 0
	v_mad_u64_u32 v[25:26], null, 0xd2511f53, v3, 0
	s_delay_alu instid0(VALU_DEP_2) | instskip(SKIP_1) | instid1(VALU_DEP_2)
	v_xor_b32_e32 v1, v23, v9
	v_add_co_u32 v23, null, 0x76cf5d0a, v11
	v_xor_b32_e32 v1, v1, v13
	s_delay_alu instid0(VALU_DEP_1) | instskip(SKIP_4) | instid1(VALU_DEP_2)
	v_mad_u64_u32 v[27:28], null, 0xcd9e8d57, v1, 0
	v_add_f64 v[16:17], v[33:34], -v[20:21]
	v_add_f64 v[3:4], v[4:5], v[14:15]
	v_add_co_u32 v20, null, 0xbb67ae85, v11
	v_add_co_u32 v21, null, 0x9e3779b9, v8
	v_xor3_b32 v1, v20, v26, v22
	v_add_co_u32 v22, null, 0x3c6ef372, v8
	v_add_co_u32 v26, null, 0x78dde6e4, v8
	s_delay_alu instid0(VALU_DEP_3) | instskip(NEXT) | instid1(VALU_DEP_1)
	v_mad_u64_u32 v[14:15], null, 0xcd9e8d57, v1, 0
	v_xor3_b32 v1, v22, v15, v27
	v_add_co_u32 v27, null, 0xed9eba14, v11
	v_add_f64 v[5:6], v[6:7], -v[16:17]
	v_xor3_b32 v7, v21, v28, v24
	s_delay_alu instid0(VALU_DEP_4) | instskip(SKIP_1) | instid1(VALU_DEP_3)
	v_mad_u64_u32 v[28:29], null, 0xd2511f53, v1, 0
	v_add_co_u32 v24, null, 0x32370b8f, v11
	v_mad_u64_u32 v[16:17], null, 0xd2511f53, v7, 0
	s_delay_alu instid0(VALU_DEP_1) | instskip(SKIP_1) | instid1(VALU_DEP_3)
	v_xor3_b32 v7, v23, v17, v25
	v_add_co_u32 v25, null, 0xdaa66d2b, v8
	v_xor3_b32 v1, v24, v29, v16
	v_add_co_u32 v29, null, 0x1715609d, v8
	s_delay_alu instid0(VALU_DEP_4) | instskip(NEXT) | instid1(VALU_DEP_1)
	v_mad_u64_u32 v[30:31], null, 0xcd9e8d57, v7, 0
	v_xor3_b32 v7, v25, v31, v14
	s_delay_alu instid0(VALU_DEP_4) | instskip(SKIP_1) | instid1(VALU_DEP_3)
	v_mad_u64_u32 v[14:15], null, 0xcd9e8d57, v1, 0
	v_add_co_u32 v31, null, 0x646e171e, v11
	v_mad_u64_u32 v[16:17], null, 0xd2511f53, v7, 0
	s_delay_alu instid0(VALU_DEP_3) | instskip(SKIP_2) | instid1(VALU_DEP_4)
	v_xor3_b32 v1, v26, v15, v30
	v_add_f64 v[3:4], v[3:4], v[5:6]
	v_add_co_u32 v30, null, 0xb54cda56, v8
	v_xor3_b32 v7, v27, v17, v28
	s_delay_alu instid0(VALU_DEP_4) | instskip(SKIP_1) | instid1(VALU_DEP_3)
	v_mad_u64_u32 v[5:6], null, 0xd2511f53, v1, 0
	v_add_co_u32 v28, null, 0xa9066899, v11
	v_mad_u64_u32 v[35:36], null, 0xcd9e8d57, v7, 0
	s_delay_alu instid0(VALU_DEP_2) | instskip(NEXT) | instid1(VALU_DEP_2)
	v_xor3_b32 v1, v28, v6, v16
	v_xor3_b32 v16, v29, v36, v14
	s_delay_alu instid0(VALU_DEP_2) | instskip(SKIP_1) | instid1(VALU_DEP_3)
	v_mad_u64_u32 v[6:7], null, 0xcd9e8d57, v1, 0
	v_add_nc_u32_e32 v36, 0x96a522ad, v9
	v_mad_u64_u32 v[14:15], null, 0xd2511f53, v16, 0
	s_delay_alu instid0(VALU_DEP_3) | instskip(SKIP_1) | instid1(VALU_DEP_3)
	v_xor3_b32 v7, v30, v7, v35
	v_add_co_u32 v35, null, 0x5384540f, v8
	v_xor3_b32 v5, v31, v15, v5
	s_delay_alu instid0(VALU_DEP_1) | instskip(SKIP_3) | instid1(VALU_DEP_4)
	v_mad_u64_u32 v[15:16], null, 0xcd9e8d57, v5, 0
	v_add_f64 v[1:2], v[33:34], v[3:4]
	v_mad_u64_u32 v[3:4], null, 0xd2511f53, v7, 0
	v_add_co_u32 v33, null, 0x1fd5c5a3, v11
	v_xor3_b32 v5, v35, v16, v6
	v_add_nc_u32_e32 v34, 0x8ff34781, v8
	s_delay_alu instid0(VALU_DEP_3) | instskip(NEXT) | instid1(VALU_DEP_3)
	v_xor3_b32 v4, v33, v4, v14
	v_mad_u64_u32 v[42:43], null, 0xd2511f53, v5, 0
	s_delay_alu instid0(VALU_DEP_2) | instskip(NEXT) | instid1(VALU_DEP_1)
	v_mad_u64_u32 v[16:17], null, 0xcd9e8d57, v4, 0
	v_xor3_b32 v4, v37, v17, v15
	v_mad_u64_u32 v[6:7], null, s15, s31, v[0:1]
	s_add_i32 s15, s15, s33
	s_mul_i32 s33, s33, s34
	v_mad_u64_u32 v[14:15], null, s15, s31, v[0:1]
	v_xor3_b32 v0, v38, v43, v3
	v_mad_u64_u32 v[43:44], null, 0xd2511f53, v4, 0
	s_xor_b32 s15, s29, 0x80000000
	s_delay_alu instid0(VALU_DEP_4) | instskip(NEXT) | instid1(VALU_DEP_3)
	v_mul_lo_u32 v40, s34, v6
	v_mad_u64_u32 v[4:5], null, 0xcd9e8d57, v0, 0
	v_cndmask_b32_e64 v0, v1, s28, s23
	v_cndmask_b32_e64 v1, v2, s15, s23
	v_mov_b32_e32 v6, v43
	v_mul_lo_u32 v41, s34, v14
	s_mul_i32 s33, s33, s31
	s_mov_b32 s15, 0
	v_cndmask_b32_e32 v1, 0x7ff80000, v1, vcc_lo
	v_cmp_nge_f64_e64 vcc_lo, s[28:29], 1.0
	v_xor3_b32 v3, v5, v16, v34
	v_xor3_b32 v5, v44, v42, v36
	v_mov_b32_e32 v42, v13
	v_cndmask_b32_e32 v14, 0, v0, vcc_lo
	v_cmp_neq_f64_e64 vcc_lo, s[28:29], 1.0
	s_lshl_b32 s28, s33, 1
	s_mov_b32 s29, 0
	v_cndmask_b32_e32 v15, 0xfff00000, v1, vcc_lo
	s_branch .LBB20_8
.LBB20_7:                               ;   in Loop: Header=BB20_8 Depth=1
	s_or_b32 exec_lo, exec_lo, s31
	v_add_co_u32 v12, vcc_lo, v12, s30
	v_add_co_ci_u32_e32 v13, vcc_lo, 0, v13, vcc_lo
	v_mov_b32_e32 v3, v16
	s_add_i32 s29, s29, s28
	s_waitcnt lgkmcnt(0)
	s_waitcnt_vscnt null, 0x0
	v_cmp_le_i64_e32 vcc_lo, s[2:3], v[12:13]
	s_barrier
	v_mov_b32_e32 v6, v3
	v_dual_mov_b32 v5, v2 :: v_dual_mov_b32 v4, v1
	v_mov_b32_e32 v3, v0
	s_or_b32 s15, vcc_lo, s15
	buffer_gl0_inv
	s_and_not1_b32 exec_lo, exec_lo, s15
	s_cbranch_execz .LBB20_22
.LBB20_8:                               ; =>This Inner Loop Header: Depth=1
	v_add_co_u32 v18, vcc_lo, v18, 1
	s_delay_alu instid0(VALU_DEP_1) | instskip(SKIP_2) | instid1(VALU_DEP_1)
	v_cndmask_b32_e64 v0, 0, 1, vcc_lo
	v_add_co_ci_u32_e32 v19, vcc_lo, 0, v19, vcc_lo
	s_mov_b32 s23, exec_lo
	v_cmp_eq_u32_e32 vcc_lo, 0, v19
	s_delay_alu instid0(VALU_DEP_3) | instskip(NEXT) | instid1(VALU_DEP_1)
	v_cndmask_b32_e32 v0, 0, v0, vcc_lo
	v_add_nc_u32_e32 v39, v0, v39
	s_delay_alu instid0(VALU_DEP_1) | instskip(SKIP_2) | instid1(VALU_DEP_2)
	v_cmp_eq_u32_e32 vcc_lo, 0, v39
	v_cndmask_b32_e32 v0, 0, v0, vcc_lo
	v_mad_u64_u32 v[16:17], null, 0xcd9e8d57, v39, 0
	v_add_nc_u32_e32 v42, v0, v42
	v_mad_u64_u32 v[0:1], null, 0xd2511f53, v18, 0
	s_delay_alu instid0(VALU_DEP_3) | instskip(NEXT) | instid1(VALU_DEP_2)
	v_xor3_b32 v7, v17, v8, v19
	v_xor_b32_e32 v1, v1, v9
	s_delay_alu instid0(VALU_DEP_1) | instskip(NEXT) | instid1(VALU_DEP_3)
	v_xor_b32_e32 v11, v42, v1
	v_mad_u64_u32 v[1:2], null, 0xd2511f53, v7, 0
	s_delay_alu instid0(VALU_DEP_2) | instskip(NEXT) | instid1(VALU_DEP_2)
	v_mad_u64_u32 v[43:44], null, 0xcd9e8d57, v11, 0
	v_xor3_b32 v0, v20, v2, v0
	s_delay_alu instid0(VALU_DEP_2) | instskip(NEXT) | instid1(VALU_DEP_2)
	v_xor3_b32 v2, v21, v44, v16
	v_mad_u64_u32 v[16:17], null, 0xcd9e8d57, v0, 0
	s_delay_alu instid0(VALU_DEP_2) | instskip(NEXT) | instid1(VALU_DEP_2)
	v_mad_u64_u32 v[44:45], null, 0xd2511f53, v2, 0
	v_xor3_b32 v2, v22, v17, v43
	s_delay_alu instid0(VALU_DEP_2) | instskip(NEXT) | instid1(VALU_DEP_2)
	v_xor3_b32 v7, v23, v45, v1
	;; [unrolled: 6-line block ×9, first 2 shown]
	v_mov_b32_e32 v2, v7
	v_cmpx_lt_i32_e32 1, v32
	s_xor_b32 s23, exec_lo, s23
	s_cbranch_execnz .LBB20_14
; %bb.9:                                ;   in Loop: Header=BB20_8 Depth=1
	s_and_not1_saveexec_b32 s23, s23
	s_cbranch_execnz .LBB20_19
.LBB20_10:                              ;   in Loop: Header=BB20_8 Depth=1
	s_or_b32 exec_lo, exec_lo, s23
	s_delay_alu instid0(SALU_CYCLE_1)
	s_mov_b32 s31, exec_lo
	v_cmpx_gt_i64_e64 s[4:5], v[12:13]
	s_cbranch_execz .LBB20_12
.LBB20_11:                              ;   in Loop: Header=BB20_8 Depth=1
	v_lshrrev_b32_e32 v4, 11, v4
	s_mov_b32 s23, s7
	s_delay_alu instid0(VALU_DEP_1) | instskip(SKIP_1) | instid1(VALU_DEP_2)
	v_cvt_f64_u32_e32 v[43:44], v4
	v_cvt_f64_u32_e32 v[3:4], v3
	v_ldexp_f64 v[43:44], v[43:44], 32
	s_delay_alu instid0(VALU_DEP_1) | instskip(NEXT) | instid1(VALU_DEP_1)
	v_add_f64 v[3:4], v[43:44], v[3:4]
	v_fma_f64 v[3:4], 0x3ca00000, v[3:4], 0x3ca00000
	s_delay_alu instid0(VALU_DEP_1) | instskip(SKIP_1) | instid1(VALU_DEP_2)
	v_frexp_mant_f64_e32 v[43:44], v[3:4]
	v_frexp_exp_i32_f64_e32 v7, v[3:4]
	v_cmp_gt_f64_e32 vcc_lo, s[6:7], v[43:44]
	v_cndmask_b32_e64 v11, 0x3ff00000, 2.0, vcc_lo
	s_delay_alu instid0(VALU_DEP_3) | instskip(SKIP_1) | instid1(VALU_DEP_3)
	v_subrev_co_ci_u32_e32 v7, vcc_lo, 0, v7, vcc_lo
	v_cmp_eq_f64_e32 vcc_lo, 0x7ff00000, v[3:4]
	v_mul_f64 v[43:44], v[43:44], v[10:11]
	s_delay_alu instid0(VALU_DEP_1) | instskip(SKIP_1) | instid1(VALU_DEP_2)
	v_add_f64 v[45:46], v[43:44], 1.0
	v_add_f64 v[51:52], v[43:44], -1.0
	v_rcp_f64_e32 v[47:48], v[45:46]
	v_add_f64 v[53:54], v[45:46], -1.0
	s_delay_alu instid0(VALU_DEP_1) | instskip(SKIP_2) | instid1(VALU_DEP_1)
	v_add_f64 v[43:44], v[43:44], -v[53:54]
	s_waitcnt_depctr 0xfff
	v_fma_f64 v[49:50], -v[45:46], v[47:48], 1.0
	v_fma_f64 v[47:48], v[49:50], v[47:48], v[47:48]
	s_delay_alu instid0(VALU_DEP_1) | instskip(NEXT) | instid1(VALU_DEP_1)
	v_fma_f64 v[49:50], -v[45:46], v[47:48], 1.0
	v_fma_f64 v[47:48], v[49:50], v[47:48], v[47:48]
	s_delay_alu instid0(VALU_DEP_1) | instskip(NEXT) | instid1(VALU_DEP_1)
	v_mul_f64 v[49:50], v[51:52], v[47:48]
	v_mul_f64 v[55:56], v[45:46], v[49:50]
	s_delay_alu instid0(VALU_DEP_1) | instskip(NEXT) | instid1(VALU_DEP_1)
	v_fma_f64 v[45:46], v[49:50], v[45:46], -v[55:56]
	v_fma_f64 v[43:44], v[49:50], v[43:44], v[45:46]
	s_delay_alu instid0(VALU_DEP_1) | instskip(NEXT) | instid1(VALU_DEP_1)
	v_add_f64 v[45:46], v[55:56], v[43:44]
	v_add_f64 v[53:54], v[51:52], -v[45:46]
	v_add_f64 v[55:56], v[45:46], -v[55:56]
	s_delay_alu instid0(VALU_DEP_2) | instskip(NEXT) | instid1(VALU_DEP_2)
	v_add_f64 v[51:52], v[51:52], -v[53:54]
	v_add_f64 v[43:44], v[55:56], -v[43:44]
	s_delay_alu instid0(VALU_DEP_2) | instskip(NEXT) | instid1(VALU_DEP_1)
	v_add_f64 v[45:46], v[51:52], -v[45:46]
	v_add_f64 v[43:44], v[43:44], v[45:46]
	s_delay_alu instid0(VALU_DEP_1) | instskip(NEXT) | instid1(VALU_DEP_1)
	v_add_f64 v[43:44], v[53:54], v[43:44]
	v_mul_f64 v[43:44], v[47:48], v[43:44]
	s_delay_alu instid0(VALU_DEP_1) | instskip(NEXT) | instid1(VALU_DEP_1)
	v_add_f64 v[45:46], v[49:50], v[43:44]
	v_mul_f64 v[47:48], v[45:46], v[45:46]
	s_delay_alu instid0(VALU_DEP_1) | instskip(SKIP_1) | instid1(VALU_DEP_2)
	v_fma_f64 v[51:52], v[47:48], s[10:11], s[8:9]
	v_mul_f64 v[53:54], v[45:46], v[47:48]
	v_fma_f64 v[51:52], v[47:48], v[51:52], s[12:13]
	s_delay_alu instid0(VALU_DEP_1) | instskip(NEXT) | instid1(VALU_DEP_1)
	v_fma_f64 v[51:52], v[47:48], v[51:52], s[16:17]
	v_fma_f64 v[51:52], v[47:48], v[51:52], s[18:19]
	s_delay_alu instid0(VALU_DEP_1) | instskip(NEXT) | instid1(VALU_DEP_1)
	v_fma_f64 v[51:52], v[47:48], v[51:52], s[20:21]
	v_fma_f64 v[47:48], v[47:48], v[51:52], s[22:23]
	v_ldexp_f64 v[51:52], v[45:46], 1
	v_add_f64 v[45:46], v[45:46], -v[49:50]
	s_delay_alu instid0(VALU_DEP_3) | instskip(SKIP_1) | instid1(VALU_DEP_3)
	v_mul_f64 v[47:48], v[53:54], v[47:48]
	v_cvt_f64_i32_e32 v[53:54], v7
	v_add_f64 v[43:44], v[43:44], -v[45:46]
	s_delay_alu instid0(VALU_DEP_3) | instskip(NEXT) | instid1(VALU_DEP_3)
	v_add_f64 v[49:50], v[51:52], v[47:48]
	v_mul_f64 v[55:56], v[53:54], s[24:25]
	s_delay_alu instid0(VALU_DEP_3) | instskip(NEXT) | instid1(VALU_DEP_3)
	v_ldexp_f64 v[43:44], v[43:44], 1
	v_add_f64 v[45:46], v[49:50], -v[51:52]
	s_delay_alu instid0(VALU_DEP_3) | instskip(NEXT) | instid1(VALU_DEP_2)
	v_fma_f64 v[51:52], v[53:54], s[24:25], -v[55:56]
	v_add_f64 v[45:46], v[47:48], -v[45:46]
	s_delay_alu instid0(VALU_DEP_2) | instskip(NEXT) | instid1(VALU_DEP_2)
	v_fma_f64 v[47:48], v[53:54], s[26:27], v[51:52]
	v_add_f64 v[43:44], v[43:44], v[45:46]
	s_delay_alu instid0(VALU_DEP_2) | instskip(NEXT) | instid1(VALU_DEP_2)
	v_add_f64 v[45:46], v[55:56], v[47:48]
	v_add_f64 v[51:52], v[49:50], v[43:44]
	s_delay_alu instid0(VALU_DEP_2) | instskip(NEXT) | instid1(VALU_DEP_2)
	v_add_f64 v[55:56], v[45:46], -v[55:56]
	v_add_f64 v[53:54], v[45:46], v[51:52]
	v_add_f64 v[49:50], v[51:52], -v[49:50]
	s_delay_alu instid0(VALU_DEP_3) | instskip(NEXT) | instid1(VALU_DEP_3)
	v_add_f64 v[47:48], v[47:48], -v[55:56]
	v_add_f64 v[57:58], v[53:54], -v[45:46]
	s_delay_alu instid0(VALU_DEP_3) | instskip(NEXT) | instid1(VALU_DEP_2)
	v_add_f64 v[43:44], v[43:44], -v[49:50]
	v_add_f64 v[59:60], v[53:54], -v[57:58]
	v_add_f64 v[49:50], v[51:52], -v[57:58]
	s_delay_alu instid0(VALU_DEP_3) | instskip(NEXT) | instid1(VALU_DEP_3)
	v_add_f64 v[51:52], v[47:48], v[43:44]
	v_add_f64 v[45:46], v[45:46], -v[59:60]
	s_delay_alu instid0(VALU_DEP_1) | instskip(NEXT) | instid1(VALU_DEP_3)
	v_add_f64 v[45:46], v[49:50], v[45:46]
	v_add_f64 v[49:50], v[51:52], -v[47:48]
	s_delay_alu instid0(VALU_DEP_2) | instskip(NEXT) | instid1(VALU_DEP_2)
	v_add_f64 v[45:46], v[51:52], v[45:46]
	v_add_f64 v[51:52], v[51:52], -v[49:50]
	v_add_f64 v[43:44], v[43:44], -v[49:50]
	s_delay_alu instid0(VALU_DEP_3) | instskip(NEXT) | instid1(VALU_DEP_3)
	v_add_f64 v[55:56], v[53:54], v[45:46]
	v_add_f64 v[47:48], v[47:48], -v[51:52]
	s_delay_alu instid0(VALU_DEP_2) | instskip(NEXT) | instid1(VALU_DEP_2)
	v_add_f64 v[49:50], v[55:56], -v[53:54]
	v_add_f64 v[43:44], v[43:44], v[47:48]
	s_delay_alu instid0(VALU_DEP_2) | instskip(NEXT) | instid1(VALU_DEP_1)
	v_add_f64 v[45:46], v[45:46], -v[49:50]
	v_add_f64 v[43:44], v[43:44], v[45:46]
	s_delay_alu instid0(VALU_DEP_1) | instskip(NEXT) | instid1(VALU_DEP_1)
	v_add_f64 v[43:44], v[55:56], v[43:44]
	v_cndmask_b32_e32 v7, v43, v3, vcc_lo
	s_delay_alu instid0(VALU_DEP_2) | instskip(SKIP_1) | instid1(VALU_DEP_2)
	v_cndmask_b32_e32 v11, v44, v4, vcc_lo
	v_cmp_neq_f64_e32 vcc_lo, 0, v[3:4]
	v_cndmask_b32_e32 v4, 0xfff00000, v11, vcc_lo
	s_delay_alu instid0(VALU_DEP_4) | instskip(SKIP_1) | instid1(VALU_DEP_2)
	v_cndmask_b32_e32 v3, 0, v7, vcc_lo
	v_add_nc_u32_e32 v7, s29, v40
	v_div_scale_f64 v[43:44], null, v[14:15], v[14:15], v[3:4]
	s_delay_alu instid0(VALU_DEP_2) | instskip(NEXT) | instid1(VALU_DEP_2)
	v_ashrrev_i32_e32 v11, 31, v7
	v_rcp_f64_e32 v[45:46], v[43:44]
	s_waitcnt_depctr 0xfff
	v_fma_f64 v[47:48], -v[43:44], v[45:46], 1.0
	s_delay_alu instid0(VALU_DEP_1) | instskip(NEXT) | instid1(VALU_DEP_1)
	v_fma_f64 v[45:46], v[45:46], v[47:48], v[45:46]
	v_fma_f64 v[47:48], -v[43:44], v[45:46], 1.0
	s_delay_alu instid0(VALU_DEP_1) | instskip(SKIP_1) | instid1(VALU_DEP_1)
	v_fma_f64 v[45:46], v[45:46], v[47:48], v[45:46]
	v_div_scale_f64 v[47:48], vcc_lo, v[3:4], v[14:15], v[3:4]
	v_mul_f64 v[49:50], v[47:48], v[45:46]
	s_delay_alu instid0(VALU_DEP_1) | instskip(NEXT) | instid1(VALU_DEP_1)
	v_fma_f64 v[43:44], -v[43:44], v[49:50], v[47:48]
	v_div_fmas_f64 v[43:44], v[43:44], v[45:46], v[49:50]
	s_delay_alu instid0(VALU_DEP_1) | instskip(SKIP_3) | instid1(VALU_DEP_3)
	v_div_fixup_f64 v[3:4], v[43:44], v[14:15], v[3:4]
	s_waitcnt lgkmcnt(0)
	v_add_co_u32 v43, vcc_lo, s0, v7
	v_add_co_ci_u32_e32 v44, vcc_lo, s1, v11, vcc_lo
	v_ceil_f64_e32 v[3:4], v[3:4]
	global_store_b64 v[43:44], v[3:4], off
.LBB20_12:                              ;   in Loop: Header=BB20_8 Depth=1
	s_or_b32 exec_lo, exec_lo, s31
	v_add_co_u32 v3, vcc_lo, s14, v12
	v_add_co_ci_u32_e32 v4, vcc_lo, 0, v13, vcc_lo
	s_mov_b32 s31, exec_lo
	s_delay_alu instid0(VALU_DEP_1)
	v_cmpx_gt_i64_e64 s[4:5], v[3:4]
	s_cbranch_execz .LBB20_7
; %bb.13:                               ;   in Loop: Header=BB20_8 Depth=1
	v_lshrrev_b32_e32 v3, 11, v6
	v_cvt_f64_u32_e32 v[5:6], v5
	s_mov_b32 s23, s7
	s_delay_alu instid0(VALU_DEP_2) | instskip(NEXT) | instid1(VALU_DEP_1)
	v_cvt_f64_u32_e32 v[3:4], v3
	v_ldexp_f64 v[3:4], v[3:4], 32
	s_delay_alu instid0(VALU_DEP_1) | instskip(NEXT) | instid1(VALU_DEP_1)
	v_add_f64 v[3:4], v[3:4], v[5:6]
	v_fma_f64 v[3:4], 0x3ca00000, v[3:4], 0x3ca00000
	s_delay_alu instid0(VALU_DEP_1) | instskip(SKIP_1) | instid1(VALU_DEP_2)
	v_frexp_mant_f64_e32 v[5:6], v[3:4]
	v_frexp_exp_i32_f64_e32 v7, v[3:4]
	v_cmp_gt_f64_e32 vcc_lo, s[6:7], v[5:6]
	v_cndmask_b32_e64 v11, 0x3ff00000, 2.0, vcc_lo
	s_delay_alu instid0(VALU_DEP_3) | instskip(SKIP_1) | instid1(VALU_DEP_3)
	v_subrev_co_ci_u32_e32 v7, vcc_lo, 0, v7, vcc_lo
	v_cmp_eq_f64_e32 vcc_lo, 0x7ff00000, v[3:4]
	v_mul_f64 v[5:6], v[5:6], v[10:11]
	s_delay_alu instid0(VALU_DEP_1) | instskip(SKIP_1) | instid1(VALU_DEP_2)
	v_add_f64 v[43:44], v[5:6], 1.0
	v_add_f64 v[49:50], v[5:6], -1.0
	v_rcp_f64_e32 v[45:46], v[43:44]
	v_add_f64 v[51:52], v[43:44], -1.0
	s_delay_alu instid0(VALU_DEP_1) | instskip(SKIP_2) | instid1(VALU_DEP_1)
	v_add_f64 v[5:6], v[5:6], -v[51:52]
	s_waitcnt_depctr 0xfff
	v_fma_f64 v[47:48], -v[43:44], v[45:46], 1.0
	v_fma_f64 v[45:46], v[47:48], v[45:46], v[45:46]
	s_delay_alu instid0(VALU_DEP_1) | instskip(NEXT) | instid1(VALU_DEP_1)
	v_fma_f64 v[47:48], -v[43:44], v[45:46], 1.0
	v_fma_f64 v[45:46], v[47:48], v[45:46], v[45:46]
	s_delay_alu instid0(VALU_DEP_1) | instskip(NEXT) | instid1(VALU_DEP_1)
	v_mul_f64 v[47:48], v[49:50], v[45:46]
	v_mul_f64 v[53:54], v[43:44], v[47:48]
	s_delay_alu instid0(VALU_DEP_1) | instskip(NEXT) | instid1(VALU_DEP_1)
	v_fma_f64 v[43:44], v[47:48], v[43:44], -v[53:54]
	v_fma_f64 v[5:6], v[47:48], v[5:6], v[43:44]
	s_delay_alu instid0(VALU_DEP_1) | instskip(NEXT) | instid1(VALU_DEP_1)
	v_add_f64 v[43:44], v[53:54], v[5:6]
	v_add_f64 v[51:52], v[49:50], -v[43:44]
	v_add_f64 v[53:54], v[43:44], -v[53:54]
	s_delay_alu instid0(VALU_DEP_2) | instskip(NEXT) | instid1(VALU_DEP_2)
	v_add_f64 v[49:50], v[49:50], -v[51:52]
	v_add_f64 v[5:6], v[53:54], -v[5:6]
	s_delay_alu instid0(VALU_DEP_2) | instskip(NEXT) | instid1(VALU_DEP_1)
	v_add_f64 v[43:44], v[49:50], -v[43:44]
	v_add_f64 v[5:6], v[5:6], v[43:44]
	s_delay_alu instid0(VALU_DEP_1) | instskip(NEXT) | instid1(VALU_DEP_1)
	v_add_f64 v[5:6], v[51:52], v[5:6]
	v_mul_f64 v[5:6], v[45:46], v[5:6]
	s_delay_alu instid0(VALU_DEP_1) | instskip(NEXT) | instid1(VALU_DEP_1)
	v_add_f64 v[43:44], v[47:48], v[5:6]
	v_mul_f64 v[45:46], v[43:44], v[43:44]
	s_delay_alu instid0(VALU_DEP_1) | instskip(SKIP_1) | instid1(VALU_DEP_2)
	v_fma_f64 v[49:50], v[45:46], s[10:11], s[8:9]
	v_mul_f64 v[51:52], v[43:44], v[45:46]
	v_fma_f64 v[49:50], v[45:46], v[49:50], s[12:13]
	s_delay_alu instid0(VALU_DEP_1) | instskip(NEXT) | instid1(VALU_DEP_1)
	v_fma_f64 v[49:50], v[45:46], v[49:50], s[16:17]
	v_fma_f64 v[49:50], v[45:46], v[49:50], s[18:19]
	s_delay_alu instid0(VALU_DEP_1) | instskip(NEXT) | instid1(VALU_DEP_1)
	v_fma_f64 v[49:50], v[45:46], v[49:50], s[20:21]
	v_fma_f64 v[45:46], v[45:46], v[49:50], s[22:23]
	v_ldexp_f64 v[49:50], v[43:44], 1
	v_add_f64 v[43:44], v[43:44], -v[47:48]
	s_delay_alu instid0(VALU_DEP_3) | instskip(SKIP_1) | instid1(VALU_DEP_3)
	v_mul_f64 v[45:46], v[51:52], v[45:46]
	v_cvt_f64_i32_e32 v[51:52], v7
	v_add_f64 v[5:6], v[5:6], -v[43:44]
	s_delay_alu instid0(VALU_DEP_3) | instskip(NEXT) | instid1(VALU_DEP_3)
	v_add_f64 v[47:48], v[49:50], v[45:46]
	v_mul_f64 v[53:54], v[51:52], s[24:25]
	s_delay_alu instid0(VALU_DEP_3) | instskip(NEXT) | instid1(VALU_DEP_3)
	v_ldexp_f64 v[5:6], v[5:6], 1
	v_add_f64 v[43:44], v[47:48], -v[49:50]
	s_delay_alu instid0(VALU_DEP_3) | instskip(NEXT) | instid1(VALU_DEP_2)
	v_fma_f64 v[49:50], v[51:52], s[24:25], -v[53:54]
	v_add_f64 v[43:44], v[45:46], -v[43:44]
	s_delay_alu instid0(VALU_DEP_2) | instskip(NEXT) | instid1(VALU_DEP_2)
	v_fma_f64 v[45:46], v[51:52], s[26:27], v[49:50]
	v_add_f64 v[5:6], v[5:6], v[43:44]
	s_delay_alu instid0(VALU_DEP_2) | instskip(NEXT) | instid1(VALU_DEP_2)
	v_add_f64 v[43:44], v[53:54], v[45:46]
	v_add_f64 v[49:50], v[47:48], v[5:6]
	s_delay_alu instid0(VALU_DEP_2) | instskip(NEXT) | instid1(VALU_DEP_2)
	v_add_f64 v[53:54], v[43:44], -v[53:54]
	v_add_f64 v[51:52], v[43:44], v[49:50]
	v_add_f64 v[47:48], v[49:50], -v[47:48]
	s_delay_alu instid0(VALU_DEP_3) | instskip(NEXT) | instid1(VALU_DEP_3)
	v_add_f64 v[45:46], v[45:46], -v[53:54]
	v_add_f64 v[55:56], v[51:52], -v[43:44]
	s_delay_alu instid0(VALU_DEP_3) | instskip(NEXT) | instid1(VALU_DEP_2)
	v_add_f64 v[5:6], v[5:6], -v[47:48]
	v_add_f64 v[57:58], v[51:52], -v[55:56]
	v_add_f64 v[47:48], v[49:50], -v[55:56]
	s_delay_alu instid0(VALU_DEP_3) | instskip(NEXT) | instid1(VALU_DEP_3)
	v_add_f64 v[49:50], v[45:46], v[5:6]
	v_add_f64 v[43:44], v[43:44], -v[57:58]
	s_delay_alu instid0(VALU_DEP_1) | instskip(NEXT) | instid1(VALU_DEP_3)
	v_add_f64 v[43:44], v[47:48], v[43:44]
	v_add_f64 v[47:48], v[49:50], -v[45:46]
	s_delay_alu instid0(VALU_DEP_2) | instskip(NEXT) | instid1(VALU_DEP_2)
	v_add_f64 v[43:44], v[49:50], v[43:44]
	v_add_f64 v[49:50], v[49:50], -v[47:48]
	v_add_f64 v[5:6], v[5:6], -v[47:48]
	s_delay_alu instid0(VALU_DEP_3) | instskip(NEXT) | instid1(VALU_DEP_3)
	v_add_f64 v[53:54], v[51:52], v[43:44]
	v_add_f64 v[45:46], v[45:46], -v[49:50]
	s_delay_alu instid0(VALU_DEP_2) | instskip(NEXT) | instid1(VALU_DEP_2)
	v_add_f64 v[47:48], v[53:54], -v[51:52]
	v_add_f64 v[5:6], v[5:6], v[45:46]
	s_delay_alu instid0(VALU_DEP_2) | instskip(NEXT) | instid1(VALU_DEP_1)
	v_add_f64 v[43:44], v[43:44], -v[47:48]
	v_add_f64 v[5:6], v[5:6], v[43:44]
	s_delay_alu instid0(VALU_DEP_1) | instskip(NEXT) | instid1(VALU_DEP_1)
	v_add_f64 v[5:6], v[53:54], v[5:6]
	v_dual_cndmask_b32 v5, v5, v3 :: v_dual_cndmask_b32 v6, v6, v4
	v_cmp_neq_f64_e32 vcc_lo, 0, v[3:4]
	s_delay_alu instid0(VALU_DEP_2) | instskip(NEXT) | instid1(VALU_DEP_3)
	v_cndmask_b32_e32 v4, 0xfff00000, v6, vcc_lo
	v_cndmask_b32_e32 v3, 0, v5, vcc_lo
	s_delay_alu instid0(VALU_DEP_1) | instskip(NEXT) | instid1(VALU_DEP_1)
	v_div_scale_f64 v[5:6], null, v[14:15], v[14:15], v[3:4]
	v_rcp_f64_e32 v[43:44], v[5:6]
	s_waitcnt_depctr 0xfff
	v_fma_f64 v[45:46], -v[5:6], v[43:44], 1.0
	s_delay_alu instid0(VALU_DEP_1) | instskip(NEXT) | instid1(VALU_DEP_1)
	v_fma_f64 v[43:44], v[43:44], v[45:46], v[43:44]
	v_fma_f64 v[45:46], -v[5:6], v[43:44], 1.0
	s_delay_alu instid0(VALU_DEP_1) | instskip(SKIP_1) | instid1(VALU_DEP_1)
	v_fma_f64 v[43:44], v[43:44], v[45:46], v[43:44]
	v_div_scale_f64 v[45:46], vcc_lo, v[3:4], v[14:15], v[3:4]
	v_mul_f64 v[47:48], v[45:46], v[43:44]
	s_delay_alu instid0(VALU_DEP_1) | instskip(NEXT) | instid1(VALU_DEP_1)
	v_fma_f64 v[5:6], -v[5:6], v[47:48], v[45:46]
	v_div_fmas_f64 v[5:6], v[5:6], v[43:44], v[47:48]
	s_delay_alu instid0(VALU_DEP_1) | instskip(SKIP_1) | instid1(VALU_DEP_1)
	v_div_fixup_f64 v[3:4], v[5:6], v[14:15], v[3:4]
	v_add_nc_u32_e32 v5, s29, v41
	v_ashrrev_i32_e32 v6, 31, v5
	s_waitcnt lgkmcnt(0)
	v_add_co_u32 v5, vcc_lo, s0, v5
	s_delay_alu instid0(VALU_DEP_2)
	v_add_co_ci_u32_e32 v6, vcc_lo, s1, v6, vcc_lo
	v_ceil_f64_e32 v[3:4], v[3:4]
	global_store_b64 v[5:6], v[3:4], off
	s_branch .LBB20_7
.LBB20_14:                              ;   in Loop: Header=BB20_8 Depth=1
	s_mov_b32 s31, exec_lo
	v_cmpx_lt_i32_e32 2, v32
	s_xor_b32 s31, exec_lo, s31
; %bb.15:                               ;   in Loop: Header=BB20_8 Depth=1
	v_dual_mov_b32 v4, v6 :: v_dual_mov_b32 v5, v0
	v_mov_b32_e32 v6, v1
	s_delay_alu instid0(VALU_DEP_2) | instskip(NEXT) | instid1(VALU_DEP_3)
	v_mov_b32_e32 v3, v4
	v_mov_b32_e32 v4, v5
	s_delay_alu instid0(VALU_DEP_3)
	v_mov_b32_e32 v5, v6
	v_mov_b32_e32 v6, v7
; %bb.16:                               ;   in Loop: Header=BB20_8 Depth=1
	s_and_not1_saveexec_b32 s31, s31
; %bb.17:                               ;   in Loop: Header=BB20_8 Depth=1
	s_delay_alu instid0(VALU_DEP_1)
	v_dual_mov_b32 v3, v5 :: v_dual_mov_b32 v4, v6
	v_dual_mov_b32 v5, v0 :: v_dual_mov_b32 v6, v1
; %bb.18:                               ;   in Loop: Header=BB20_8 Depth=1
	s_or_b32 exec_lo, exec_lo, s31
	s_and_not1_saveexec_b32 s23, s23
	s_cbranch_execz .LBB20_10
.LBB20_19:                              ;   in Loop: Header=BB20_8 Depth=1
	s_mov_b32 s31, exec_lo
	v_cmpx_eq_u32_e32 1, v32
; %bb.20:                               ;   in Loop: Header=BB20_8 Depth=1
	v_dual_mov_b32 v3, v4 :: v_dual_mov_b32 v4, v5
	v_dual_mov_b32 v5, v6 :: v_dual_mov_b32 v6, v0
; %bb.21:                               ;   in Loop: Header=BB20_8 Depth=1
	s_or_b32 exec_lo, exec_lo, s31
	s_delay_alu instid0(SALU_CYCLE_1) | instskip(NEXT) | instid1(SALU_CYCLE_1)
	s_or_b32 exec_lo, exec_lo, s23
	s_mov_b32 s31, exec_lo
	v_cmpx_gt_i64_e64 s[4:5], v[12:13]
	s_cbranch_execnz .LBB20_11
	s_branch .LBB20_12
.LBB20_22:
	s_endpgm
.LBB20_23:
                                        ; implicit-def: $sgpr2_sgpr3
	s_branch .LBB20_4
	.section	.rodata,"a",@progbits
	.p2align	6, 0x0
	.amdhsa_kernel _ZN2at6native12_GLOBAL__N_143distribution_elementwise_grid_stride_kernelIdLi2EZNS0_9templates4cuda21uniform_and_transformIddPNS_17CUDAGeneratorImplEZZZNS4_16geometric_kernelIS7_EEvRNS_18TensorIteratorBaseEdT_ENKUlvE_clEvENKUlvE4_clEvEUldE_EEvSA_T1_T2_EUlP25hiprandStatePhilox4_32_10E_ZNS1_27distribution_nullary_kernelIdd15HIP_vector_typeIdLj2EES7_SJ_SE_EEvSA_SG_RKT3_T4_EUlidE_EEvlNS_15PhiloxCudaStateESF_SG_
		.amdhsa_group_segment_fixed_size 0
		.amdhsa_private_segment_fixed_size 0
		.amdhsa_kernarg_size 328
		.amdhsa_user_sgpr_count 15
		.amdhsa_user_sgpr_dispatch_ptr 0
		.amdhsa_user_sgpr_queue_ptr 0
		.amdhsa_user_sgpr_kernarg_segment_ptr 1
		.amdhsa_user_sgpr_dispatch_id 0
		.amdhsa_user_sgpr_private_segment_size 0
		.amdhsa_wavefront_size32 1
		.amdhsa_uses_dynamic_stack 0
		.amdhsa_enable_private_segment 0
		.amdhsa_system_sgpr_workgroup_id_x 1
		.amdhsa_system_sgpr_workgroup_id_y 0
		.amdhsa_system_sgpr_workgroup_id_z 0
		.amdhsa_system_sgpr_workgroup_info 0
		.amdhsa_system_vgpr_workitem_id 0
		.amdhsa_next_free_vgpr 61
		.amdhsa_next_free_sgpr 35
		.amdhsa_reserve_vcc 1
		.amdhsa_float_round_mode_32 0
		.amdhsa_float_round_mode_16_64 0
		.amdhsa_float_denorm_mode_32 3
		.amdhsa_float_denorm_mode_16_64 3
		.amdhsa_dx10_clamp 1
		.amdhsa_ieee_mode 1
		.amdhsa_fp16_overflow 0
		.amdhsa_workgroup_processor_mode 1
		.amdhsa_memory_ordered 1
		.amdhsa_forward_progress 0
		.amdhsa_shared_vgpr_count 0
		.amdhsa_exception_fp_ieee_invalid_op 0
		.amdhsa_exception_fp_denorm_src 0
		.amdhsa_exception_fp_ieee_div_zero 0
		.amdhsa_exception_fp_ieee_overflow 0
		.amdhsa_exception_fp_ieee_underflow 0
		.amdhsa_exception_fp_ieee_inexact 0
		.amdhsa_exception_int_div_zero 0
	.end_amdhsa_kernel
	.section	.text._ZN2at6native12_GLOBAL__N_143distribution_elementwise_grid_stride_kernelIdLi2EZNS0_9templates4cuda21uniform_and_transformIddPNS_17CUDAGeneratorImplEZZZNS4_16geometric_kernelIS7_EEvRNS_18TensorIteratorBaseEdT_ENKUlvE_clEvENKUlvE4_clEvEUldE_EEvSA_T1_T2_EUlP25hiprandStatePhilox4_32_10E_ZNS1_27distribution_nullary_kernelIdd15HIP_vector_typeIdLj2EES7_SJ_SE_EEvSA_SG_RKT3_T4_EUlidE_EEvlNS_15PhiloxCudaStateESF_SG_,"axG",@progbits,_ZN2at6native12_GLOBAL__N_143distribution_elementwise_grid_stride_kernelIdLi2EZNS0_9templates4cuda21uniform_and_transformIddPNS_17CUDAGeneratorImplEZZZNS4_16geometric_kernelIS7_EEvRNS_18TensorIteratorBaseEdT_ENKUlvE_clEvENKUlvE4_clEvEUldE_EEvSA_T1_T2_EUlP25hiprandStatePhilox4_32_10E_ZNS1_27distribution_nullary_kernelIdd15HIP_vector_typeIdLj2EES7_SJ_SE_EEvSA_SG_RKT3_T4_EUlidE_EEvlNS_15PhiloxCudaStateESF_SG_,comdat
.Lfunc_end20:
	.size	_ZN2at6native12_GLOBAL__N_143distribution_elementwise_grid_stride_kernelIdLi2EZNS0_9templates4cuda21uniform_and_transformIddPNS_17CUDAGeneratorImplEZZZNS4_16geometric_kernelIS7_EEvRNS_18TensorIteratorBaseEdT_ENKUlvE_clEvENKUlvE4_clEvEUldE_EEvSA_T1_T2_EUlP25hiprandStatePhilox4_32_10E_ZNS1_27distribution_nullary_kernelIdd15HIP_vector_typeIdLj2EES7_SJ_SE_EEvSA_SG_RKT3_T4_EUlidE_EEvlNS_15PhiloxCudaStateESF_SG_, .Lfunc_end20-_ZN2at6native12_GLOBAL__N_143distribution_elementwise_grid_stride_kernelIdLi2EZNS0_9templates4cuda21uniform_and_transformIddPNS_17CUDAGeneratorImplEZZZNS4_16geometric_kernelIS7_EEvRNS_18TensorIteratorBaseEdT_ENKUlvE_clEvENKUlvE4_clEvEUldE_EEvSA_T1_T2_EUlP25hiprandStatePhilox4_32_10E_ZNS1_27distribution_nullary_kernelIdd15HIP_vector_typeIdLj2EES7_SJ_SE_EEvSA_SG_RKT3_T4_EUlidE_EEvlNS_15PhiloxCudaStateESF_SG_
                                        ; -- End function
	.section	.AMDGPU.csdata,"",@progbits
; Kernel info:
; codeLenInByte = 5708
; NumSgprs: 37
; NumVgprs: 61
; ScratchSize: 0
; MemoryBound: 0
; FloatMode: 240
; IeeeMode: 1
; LDSByteSize: 0 bytes/workgroup (compile time only)
; SGPRBlocks: 4
; VGPRBlocks: 7
; NumSGPRsForWavesPerEU: 37
; NumVGPRsForWavesPerEU: 61
; Occupancy: 16
; WaveLimiterHint : 0
; COMPUTE_PGM_RSRC2:SCRATCH_EN: 0
; COMPUTE_PGM_RSRC2:USER_SGPR: 15
; COMPUTE_PGM_RSRC2:TRAP_HANDLER: 0
; COMPUTE_PGM_RSRC2:TGID_X_EN: 1
; COMPUTE_PGM_RSRC2:TGID_Y_EN: 0
; COMPUTE_PGM_RSRC2:TGID_Z_EN: 0
; COMPUTE_PGM_RSRC2:TIDIG_COMP_CNT: 0
	.section	.text._ZN2at6native12_GLOBAL__N_143distribution_elementwise_grid_stride_kernelIdLi2EZNS0_9templates4cuda21uniform_and_transformIddPNS_17CUDAGeneratorImplEZZZNS4_16geometric_kernelIS7_EEvRNS_18TensorIteratorBaseEdT_ENKUlvE_clEvENKUlvE4_clEvEUldE_EEvSA_T1_T2_EUlP25hiprandStatePhilox4_32_10E_ZNS1_27distribution_nullary_kernelIdd15HIP_vector_typeIdLj2EES7_SJ_SE_EEvSA_SG_RKT3_T4_EUlidE0_EEvlNS_15PhiloxCudaStateESF_SG_,"axG",@progbits,_ZN2at6native12_GLOBAL__N_143distribution_elementwise_grid_stride_kernelIdLi2EZNS0_9templates4cuda21uniform_and_transformIddPNS_17CUDAGeneratorImplEZZZNS4_16geometric_kernelIS7_EEvRNS_18TensorIteratorBaseEdT_ENKUlvE_clEvENKUlvE4_clEvEUldE_EEvSA_T1_T2_EUlP25hiprandStatePhilox4_32_10E_ZNS1_27distribution_nullary_kernelIdd15HIP_vector_typeIdLj2EES7_SJ_SE_EEvSA_SG_RKT3_T4_EUlidE0_EEvlNS_15PhiloxCudaStateESF_SG_,comdat
	.globl	_ZN2at6native12_GLOBAL__N_143distribution_elementwise_grid_stride_kernelIdLi2EZNS0_9templates4cuda21uniform_and_transformIddPNS_17CUDAGeneratorImplEZZZNS4_16geometric_kernelIS7_EEvRNS_18TensorIteratorBaseEdT_ENKUlvE_clEvENKUlvE4_clEvEUldE_EEvSA_T1_T2_EUlP25hiprandStatePhilox4_32_10E_ZNS1_27distribution_nullary_kernelIdd15HIP_vector_typeIdLj2EES7_SJ_SE_EEvSA_SG_RKT3_T4_EUlidE0_EEvlNS_15PhiloxCudaStateESF_SG_ ; -- Begin function _ZN2at6native12_GLOBAL__N_143distribution_elementwise_grid_stride_kernelIdLi2EZNS0_9templates4cuda21uniform_and_transformIddPNS_17CUDAGeneratorImplEZZZNS4_16geometric_kernelIS7_EEvRNS_18TensorIteratorBaseEdT_ENKUlvE_clEvENKUlvE4_clEvEUldE_EEvSA_T1_T2_EUlP25hiprandStatePhilox4_32_10E_ZNS1_27distribution_nullary_kernelIdd15HIP_vector_typeIdLj2EES7_SJ_SE_EEvSA_SG_RKT3_T4_EUlidE0_EEvlNS_15PhiloxCudaStateESF_SG_
	.p2align	8
	.type	_ZN2at6native12_GLOBAL__N_143distribution_elementwise_grid_stride_kernelIdLi2EZNS0_9templates4cuda21uniform_and_transformIddPNS_17CUDAGeneratorImplEZZZNS4_16geometric_kernelIS7_EEvRNS_18TensorIteratorBaseEdT_ENKUlvE_clEvENKUlvE4_clEvEUldE_EEvSA_T1_T2_EUlP25hiprandStatePhilox4_32_10E_ZNS1_27distribution_nullary_kernelIdd15HIP_vector_typeIdLj2EES7_SJ_SE_EEvSA_SG_RKT3_T4_EUlidE0_EEvlNS_15PhiloxCudaStateESF_SG_,@function
_ZN2at6native12_GLOBAL__N_143distribution_elementwise_grid_stride_kernelIdLi2EZNS0_9templates4cuda21uniform_and_transformIddPNS_17CUDAGeneratorImplEZZZNS4_16geometric_kernelIS7_EEvRNS_18TensorIteratorBaseEdT_ENKUlvE_clEvENKUlvE4_clEvEUldE_EEvSA_T1_T2_EUlP25hiprandStatePhilox4_32_10E_ZNS1_27distribution_nullary_kernelIdd15HIP_vector_typeIdLj2EES7_SJ_SE_EEvSA_SG_RKT3_T4_EUlidE0_EEvlNS_15PhiloxCudaStateESF_SG_: ; @_ZN2at6native12_GLOBAL__N_143distribution_elementwise_grid_stride_kernelIdLi2EZNS0_9templates4cuda21uniform_and_transformIddPNS_17CUDAGeneratorImplEZZZNS4_16geometric_kernelIS7_EEvRNS_18TensorIteratorBaseEdT_ENKUlvE_clEvENKUlvE4_clEvEUldE_EEvSA_T1_T2_EUlP25hiprandStatePhilox4_32_10E_ZNS1_27distribution_nullary_kernelIdd15HIP_vector_typeIdLj2EES7_SJ_SE_EEvSA_SG_RKT3_T4_EUlidE0_EEvlNS_15PhiloxCudaStateESF_SG_
; %bb.0:
	s_clause 0x2
	s_load_b64 s[4:5], s[0:1], 0x10
	s_load_b128 s[16:19], s[0:1], 0x0
	s_load_b32 s2, s[0:1], 0x20
	s_waitcnt lgkmcnt(0)
	v_dual_mov_b32 v2, s4 :: v_dual_mov_b32 v3, s5
	v_dual_mov_b32 v8, s18 :: v_dual_mov_b32 v9, s19
	s_bitcmp0_b32 s2, 0
	s_mov_b32 s2, 0
	s_cbranch_scc1 .LBB21_2
; %bb.1:
	v_dual_mov_b32 v1, s4 :: v_dual_mov_b32 v2, s5
	v_dual_mov_b32 v4, s18 :: v_dual_mov_b32 v5, s19
	s_load_b64 s[4:5], s[0:1], 0x18
	flat_load_b64 v[2:3], v[1:2]
	flat_load_b64 v[8:9], v[4:5]
	s_waitcnt vmcnt(1) lgkmcnt(0)
	v_add_co_u32 v2, vcc_lo, v2, s4
	v_add_co_ci_u32_e32 v3, vcc_lo, s5, v3, vcc_lo
.LBB21_2:
	s_clause 0x1
	s_load_b32 s3, s[0:1], 0x154
	s_load_b32 s5, s[0:1], 0x148
	s_waitcnt lgkmcnt(0)
	s_and_b32 s4, s3, 0xffff
	s_add_u32 s6, s16, -1
	s_mul_i32 s33, s5, s4
	s_addc_u32 s3, s17, -1
	s_lshl_b32 s46, s33, 1
	s_cmp_lg_u64 s[2:3], 0
	s_cbranch_scc0 .LBB21_49
; %bb.3:
	v_cvt_f32_ubyte0_e32 v1, 0
	v_cvt_f32_u32_e32 v4, s46
	s_sub_u32 s8, 0, s46
	s_subb_u32 s9, 0, 0
	s_delay_alu instid0(VALU_DEP_1) | instskip(NEXT) | instid1(VALU_DEP_1)
	v_fmamk_f32 v1, v1, 0x4f800000, v4
	v_rcp_f32_e32 v1, v1
	s_waitcnt_depctr 0xfff
	v_mul_f32_e32 v1, 0x5f7ffffc, v1
	s_delay_alu instid0(VALU_DEP_1) | instskip(NEXT) | instid1(VALU_DEP_1)
	v_mul_f32_e32 v4, 0x2f800000, v1
	v_trunc_f32_e32 v4, v4
	s_delay_alu instid0(VALU_DEP_1) | instskip(SKIP_1) | instid1(VALU_DEP_2)
	v_fmamk_f32 v1, v4, 0xcf800000, v1
	v_cvt_u32_f32_e32 v4, v4
	v_cvt_u32_f32_e32 v1, v1
	s_delay_alu instid0(VALU_DEP_2) | instskip(NEXT) | instid1(VALU_DEP_2)
	v_readfirstlane_b32 s2, v4
	v_readfirstlane_b32 s7, v1
	s_delay_alu instid0(VALU_DEP_2) | instskip(NEXT) | instid1(VALU_DEP_1)
	s_mul_i32 s10, s8, s2
	s_mul_hi_u32 s12, s8, s7
	s_mul_i32 s11, s9, s7
	s_add_i32 s10, s12, s10
	s_mul_i32 s13, s8, s7
	s_add_i32 s10, s10, s11
	s_mul_hi_u32 s12, s7, s13
	s_mul_hi_u32 s14, s2, s13
	s_mul_i32 s11, s2, s13
	s_mul_hi_u32 s13, s7, s10
	s_mul_i32 s7, s7, s10
	s_mul_hi_u32 s18, s2, s10
	s_add_u32 s7, s12, s7
	s_addc_u32 s12, 0, s13
	s_add_u32 s7, s7, s11
	s_mul_i32 s10, s2, s10
	s_addc_u32 s7, s12, s14
	s_addc_u32 s11, s18, 0
	s_add_u32 s7, s7, s10
	s_addc_u32 s10, 0, s11
	v_add_co_u32 v1, s7, v1, s7
	s_delay_alu instid0(VALU_DEP_1) | instskip(SKIP_1) | instid1(VALU_DEP_1)
	s_cmp_lg_u32 s7, 0
	s_addc_u32 s2, s2, s10
	v_readfirstlane_b32 s7, v1
	s_mul_i32 s10, s8, s2
	s_delay_alu instid0(VALU_DEP_1)
	s_mul_hi_u32 s11, s8, s7
	s_mul_i32 s9, s9, s7
	s_add_i32 s10, s11, s10
	s_mul_i32 s8, s8, s7
	s_add_i32 s10, s10, s9
	s_mul_hi_u32 s11, s2, s8
	s_mul_i32 s12, s2, s8
	s_mul_hi_u32 s8, s7, s8
	s_mul_hi_u32 s13, s7, s10
	s_mul_i32 s7, s7, s10
	s_mul_hi_u32 s9, s2, s10
	s_add_u32 s7, s8, s7
	s_addc_u32 s8, 0, s13
	s_add_u32 s7, s7, s12
	s_mul_i32 s10, s2, s10
	s_addc_u32 s7, s8, s11
	s_addc_u32 s8, s9, 0
	s_add_u32 s7, s7, s10
	s_addc_u32 s8, 0, s8
	v_add_co_u32 v1, s7, v1, s7
	s_delay_alu instid0(VALU_DEP_1) | instskip(SKIP_2) | instid1(VALU_DEP_1)
	s_cmp_lg_u32 s7, 0
	s_addc_u32 s7, s2, s8
	s_ashr_i32 s8, s3, 31
	v_readfirstlane_b32 s10, v1
	s_add_u32 s2, s6, s8
	s_mov_b32 s9, s8
	s_addc_u32 s3, s3, s8
	s_delay_alu instid0(SALU_CYCLE_1) | instskip(NEXT) | instid1(SALU_CYCLE_1)
	s_xor_b64 s[2:3], s[2:3], s[8:9]
	s_mul_i32 s12, s2, s7
	s_mul_hi_u32 s13, s2, s10
	s_mul_hi_u32 s11, s2, s7
	;; [unrolled: 1-line block ×3, first 2 shown]
	s_mul_i32 s10, s3, s10
	s_add_u32 s12, s13, s12
	s_addc_u32 s11, 0, s11
	s_mul_hi_u32 s14, s3, s7
	s_add_u32 s10, s12, s10
	s_mul_i32 s7, s3, s7
	s_addc_u32 s10, s11, s18
	s_addc_u32 s11, s14, 0
	s_add_u32 s7, s10, s7
	s_addc_u32 s10, 0, s11
	s_mul_i32 s12, s46, s7
	s_add_u32 s11, s7, 1
	v_sub_co_u32 v1, s2, s2, s12
	s_mul_hi_u32 s12, s46, s7
	s_addc_u32 s13, s10, 0
	s_mul_i32 s14, s46, s10
	s_delay_alu instid0(VALU_DEP_1)
	v_sub_co_u32 v4, s18, v1, s46
	s_add_u32 s19, s7, 2
	s_addc_u32 s20, s10, 0
	s_add_i32 s12, s12, s14
	s_cmp_lg_u32 s2, 0
	v_readfirstlane_b32 s2, v4
	s_subb_u32 s3, s3, s12
	s_cmp_lg_u32 s18, 0
	s_subb_u32 s12, s3, 0
	s_delay_alu instid0(VALU_DEP_1) | instskip(SKIP_4) | instid1(SALU_CYCLE_1)
	s_cmp_ge_u32 s2, s46
	s_cselect_b32 s2, -1, 0
	s_cmp_eq_u32 s12, 0
	v_readfirstlane_b32 s12, v1
	s_cselect_b32 s2, s2, -1
	s_cmp_lg_u32 s2, 0
	s_cselect_b32 s2, s19, s11
	s_cselect_b32 s11, s20, s13
	s_cmp_ge_u32 s12, s46
	s_cselect_b32 s12, -1, 0
	s_cmp_eq_u32 s3, 0
	s_cselect_b32 s3, s12, -1
	s_delay_alu instid0(SALU_CYCLE_1) | instskip(SKIP_2) | instid1(SALU_CYCLE_1)
	s_cmp_lg_u32 s3, 0
	s_cselect_b32 s3, s11, s10
	s_cselect_b32 s2, s2, s7
	s_xor_b64 s[2:3], s[2:3], s[8:9]
	s_delay_alu instid0(SALU_CYCLE_1)
	s_sub_u32 s2, s2, s8
	s_subb_u32 s3, s3, s8
	s_cbranch_execnz .LBB21_5
.LBB21_4:
	v_cvt_f32_u32_e32 v1, s46
	s_sub_i32 s3, 0, s46
	s_delay_alu instid0(VALU_DEP_1) | instskip(SKIP_2) | instid1(VALU_DEP_1)
	v_rcp_iflag_f32_e32 v1, v1
	s_waitcnt_depctr 0xfff
	v_mul_f32_e32 v1, 0x4f7ffffe, v1
	v_cvt_u32_f32_e32 v1, v1
	s_delay_alu instid0(VALU_DEP_1) | instskip(NEXT) | instid1(VALU_DEP_1)
	v_readfirstlane_b32 s2, v1
	s_mul_i32 s3, s3, s2
	s_delay_alu instid0(SALU_CYCLE_1) | instskip(NEXT) | instid1(SALU_CYCLE_1)
	s_mul_hi_u32 s3, s2, s3
	s_add_i32 s2, s2, s3
	s_delay_alu instid0(SALU_CYCLE_1) | instskip(NEXT) | instid1(SALU_CYCLE_1)
	s_mul_hi_u32 s2, s6, s2
	s_mul_i32 s3, s2, s46
	s_delay_alu instid0(SALU_CYCLE_1)
	s_sub_i32 s3, s6, s3
	s_add_i32 s6, s2, 1
	s_sub_i32 s7, s3, s46
	s_cmp_ge_u32 s3, s46
	s_cselect_b32 s2, s6, s2
	s_cselect_b32 s3, s7, s3
	s_add_i32 s6, s2, 1
	s_cmp_ge_u32 s3, s46
	s_mov_b32 s3, 0
	s_cselect_b32 s2, s6, s2
.LBB21_5:
	v_mov_b32_e32 v10, 0
	s_add_u32 s2, s2, 1
	s_addc_u32 s3, s3, 0
	s_mul_hi_u32 s5, s5, s4
	s_mul_hi_u32 s6, s33, s2
	v_mov_b32_e32 v1, v10
	s_mul_i32 s3, s33, s3
	s_mul_i32 s5, s5, s2
	s_add_i32 s3, s6, s3
	s_mul_i32 s2, s33, s2
	v_mad_u64_u32 v[12:13], null, s4, s15, v[0:1]
	s_add_i32 s3, s3, s5
	s_mov_b32 s4, exec_lo
	s_lshl_b64 s[2:3], s[2:3], 1
	s_delay_alu instid0(VALU_DEP_1) | instid1(SALU_CYCLE_1)
	v_cmpx_gt_i64_e64 s[2:3], v[12:13]
	s_cbranch_execz .LBB21_48
; %bb.6:
	s_clause 0x1
	s_load_b128 s[12:15], s[0:1], 0x138
	s_load_b64 s[40:41], s[0:1], 0xf4
	s_mov_b32 s18, 0x55555555
	s_mov_b32 s19, 0x3fe55555
	s_mov_b32 s20, 0x6b47b09a
	s_mov_b32 s22, 0xbf559e2b
	s_mov_b32 s21, 0x3fc38538
	s_mov_b32 s23, 0x3fc3ab76
	s_mov_b32 s24, 0xd7f4df2e
	s_mov_b32 s25, 0x3fc7474d
	s_mov_b32 s26, 0x16291751
	s_mov_b32 s27, 0x3fcc71c0
	s_mov_b32 s28, 0x9b27acf1
	s_mov_b32 s29, 0x3fd24924
	s_mov_b32 s30, 0x998ef7b6
	s_mov_b32 s31, 0x3fd99999
	s_mov_b32 s34, 0x55555780
	s_mov_b32 s35, s19
	s_mov_b32 s36, 0xfefa39ef
	s_mov_b32 s37, 0x3fe62e42
	s_waitcnt lgkmcnt(0)
	v_add_f64 v[0:1], -s[14:15], 1.0
	s_mov_b32 s38, 0x3b39803f
	s_mov_b32 s39, 0x3c7abc9e
	s_waitcnt vmcnt(0)
	v_mov_b32_e32 v40, v9
	v_cmp_eq_f64_e64 s44, 0xfff00000, s[14:15]
	s_load_b256 s[4:11], s[0:1], 0x30
	v_add_co_u32 v34, null, 0x1715609d, v8
	s_add_u32 s42, s0, 48
	s_addc_u32 s43, s1, 0
	v_add_co_u32 v35, null, 0xb54cda56, v8
	v_add_co_u32 v33, null, 0x5384540f, v8
	v_mov_b32_e32 v41, v13
	s_mov_b32 s47, 0
	v_frexp_mant_f64_e32 v[4:5], v[0:1]
	v_frexp_exp_i32_f64_e32 v11, v[0:1]
	v_add_f64 v[6:7], v[0:1], -1.0
	s_delay_alu instid0(VALU_DEP_3) | instskip(NEXT) | instid1(VALU_DEP_2)
	v_cmp_gt_f64_e32 vcc_lo, s[18:19], v[4:5]
	v_add_f64 v[4:5], v[6:7], -v[0:1]
	v_add_f64 v[6:7], -s[14:15], -v[6:7]
	v_subrev_co_ci_u32_e32 v11, vcc_lo, 0, v11, vcc_lo
	s_delay_alu instid0(VALU_DEP_3) | instskip(SKIP_1) | instid1(VALU_DEP_3)
	v_add_f64 v[4:5], v[4:5], 1.0
	v_cmp_ngt_f64_e64 vcc_lo, s[14:15], 1.0
	v_sub_nc_u32_e32 v16, 0, v11
	s_delay_alu instid0(VALU_DEP_1) | instskip(NEXT) | instid1(VALU_DEP_4)
	v_ldexp_f64 v[0:1], v[0:1], v16
	v_add_f64 v[4:5], v[6:7], v[4:5]
	s_delay_alu instid0(VALU_DEP_2) | instskip(SKIP_1) | instid1(VALU_DEP_3)
	v_add_f64 v[14:15], v[0:1], 1.0
	v_add_f64 v[20:21], v[0:1], -1.0
	v_ldexp_f64 v[4:5], v[4:5], v16
	s_delay_alu instid0(VALU_DEP_3) | instskip(NEXT) | instid1(VALU_DEP_3)
	v_add_f64 v[6:7], v[14:15], -1.0
	v_add_f64 v[22:23], v[20:21], 1.0
	s_delay_alu instid0(VALU_DEP_2) | instskip(NEXT) | instid1(VALU_DEP_2)
	v_add_f64 v[6:7], v[0:1], -v[6:7]
	v_add_f64 v[0:1], v[0:1], -v[22:23]
	s_delay_alu instid0(VALU_DEP_2) | instskip(NEXT) | instid1(VALU_DEP_2)
	v_add_f64 v[6:7], v[4:5], v[6:7]
	v_add_f64 v[0:1], v[4:5], v[0:1]
	s_delay_alu instid0(VALU_DEP_2) | instskip(NEXT) | instid1(VALU_DEP_2)
	v_add_f64 v[16:17], v[14:15], v[6:7]
	v_add_f64 v[22:23], v[20:21], v[0:1]
	s_delay_alu instid0(VALU_DEP_2) | instskip(SKIP_1) | instid1(VALU_DEP_2)
	v_rcp_f64_e32 v[18:19], v[16:17]
	v_add_f64 v[14:15], v[16:17], -v[14:15]
	v_add_f64 v[20:21], v[22:23], -v[20:21]
	s_delay_alu instid0(VALU_DEP_2) | instskip(SKIP_3) | instid1(VALU_DEP_2)
	v_add_f64 v[6:7], v[6:7], -v[14:15]
	s_waitcnt_depctr 0xfff
	v_fma_f64 v[24:25], -v[16:17], v[18:19], 1.0
	v_add_f64 v[0:1], v[0:1], -v[20:21]
	v_fma_f64 v[18:19], v[24:25], v[18:19], v[18:19]
	s_delay_alu instid0(VALU_DEP_1) | instskip(NEXT) | instid1(VALU_DEP_1)
	v_fma_f64 v[4:5], -v[16:17], v[18:19], 1.0
	v_fma_f64 v[4:5], v[4:5], v[18:19], v[18:19]
	s_delay_alu instid0(VALU_DEP_1) | instskip(NEXT) | instid1(VALU_DEP_1)
	v_mul_f64 v[18:19], v[22:23], v[4:5]
	v_mul_f64 v[24:25], v[16:17], v[18:19]
	s_delay_alu instid0(VALU_DEP_1) | instskip(NEXT) | instid1(VALU_DEP_1)
	v_fma_f64 v[14:15], v[18:19], v[16:17], -v[24:25]
	v_fma_f64 v[14:15], v[18:19], v[6:7], v[14:15]
	s_delay_alu instid0(VALU_DEP_1) | instskip(NEXT) | instid1(VALU_DEP_1)
	v_add_f64 v[26:27], v[24:25], v[14:15]
	v_add_f64 v[28:29], v[22:23], -v[26:27]
	v_add_f64 v[20:21], v[26:27], -v[24:25]
	s_delay_alu instid0(VALU_DEP_2) | instskip(NEXT) | instid1(VALU_DEP_2)
	v_add_f64 v[22:23], v[22:23], -v[28:29]
	v_add_f64 v[14:15], v[20:21], -v[14:15]
	s_delay_alu instid0(VALU_DEP_2) | instskip(NEXT) | instid1(VALU_DEP_1)
	v_add_f64 v[22:23], v[22:23], -v[26:27]
	v_add_f64 v[0:1], v[0:1], v[22:23]
	s_delay_alu instid0(VALU_DEP_1) | instskip(NEXT) | instid1(VALU_DEP_1)
	v_add_f64 v[0:1], v[14:15], v[0:1]
	v_add_f64 v[14:15], v[28:29], v[0:1]
	s_delay_alu instid0(VALU_DEP_1) | instskip(SKIP_3) | instid1(VALU_DEP_4)
	v_mul_f64 v[20:21], v[4:5], v[14:15]
	v_add_f64 v[26:27], v[28:29], -v[14:15]
	v_add_co_u32 v28, null, 0x78dde6e4, v8
	v_add_nc_u32_e32 v29, 0x8ff34781, v8
	v_mul_f64 v[22:23], v[16:17], v[20:21]
	s_delay_alu instid0(VALU_DEP_4)
	v_add_f64 v[0:1], v[0:1], v[26:27]
	v_and_b32_e32 v27, 3, v2
	v_add_co_u32 v26, null, 0xdaa66d2b, v8
	v_add_co_u32 v30, null, 0xed9eba14, v40
	v_add_co_u32 v32, null, 0xa9066899, v40
	v_add_co_u32 v36, null, 0x646e171e, v40
	v_add_co_u32 v37, null, 0x1fd5c5a3, v40
	v_fma_f64 v[16:17], v[20:21], v[16:17], -v[22:23]
	s_delay_alu instid0(VALU_DEP_1) | instskip(NEXT) | instid1(VALU_DEP_1)
	v_fma_f64 v[6:7], v[20:21], v[6:7], v[16:17]
	v_add_f64 v[16:17], v[22:23], v[6:7]
	s_delay_alu instid0(VALU_DEP_1) | instskip(SKIP_1) | instid1(VALU_DEP_2)
	v_add_f64 v[24:25], v[14:15], -v[16:17]
	v_add_f64 v[22:23], v[16:17], -v[22:23]
	;; [unrolled: 1-line block ×3, first 2 shown]
	s_delay_alu instid0(VALU_DEP_2) | instskip(NEXT) | instid1(VALU_DEP_2)
	v_add_f64 v[6:7], v[22:23], -v[6:7]
	v_add_f64 v[14:15], v[14:15], -v[16:17]
	s_delay_alu instid0(VALU_DEP_1) | instskip(SKIP_1) | instid1(VALU_DEP_2)
	v_add_f64 v[0:1], v[0:1], v[14:15]
	v_add_f64 v[14:15], v[18:19], v[20:21]
	;; [unrolled: 1-line block ×3, first 2 shown]
	s_delay_alu instid0(VALU_DEP_2) | instskip(NEXT) | instid1(VALU_DEP_2)
	v_add_f64 v[6:7], v[14:15], -v[18:19]
	v_add_f64 v[0:1], v[24:25], v[0:1]
	s_delay_alu instid0(VALU_DEP_2) | instskip(NEXT) | instid1(VALU_DEP_2)
	v_add_f64 v[6:7], v[20:21], -v[6:7]
	v_mul_f64 v[0:1], v[4:5], v[0:1]
	s_delay_alu instid0(VALU_DEP_1) | instskip(NEXT) | instid1(VALU_DEP_1)
	v_add_f64 v[0:1], v[6:7], v[0:1]
	v_add_f64 v[4:5], v[14:15], v[0:1]
	s_delay_alu instid0(VALU_DEP_1) | instskip(NEXT) | instid1(VALU_DEP_1)
	v_mul_f64 v[6:7], v[4:5], v[4:5]
	v_fma_f64 v[16:17], v[6:7], s[22:23], s[20:21]
	v_mul_f64 v[18:19], v[4:5], v[6:7]
	s_delay_alu instid0(VALU_DEP_2) | instskip(NEXT) | instid1(VALU_DEP_1)
	v_fma_f64 v[16:17], v[6:7], v[16:17], s[24:25]
	v_fma_f64 v[16:17], v[6:7], v[16:17], s[26:27]
	s_delay_alu instid0(VALU_DEP_1) | instskip(NEXT) | instid1(VALU_DEP_1)
	v_fma_f64 v[16:17], v[6:7], v[16:17], s[28:29]
	v_fma_f64 v[16:17], v[6:7], v[16:17], s[30:31]
	s_delay_alu instid0(VALU_DEP_1) | instskip(SKIP_4) | instid1(SALU_CYCLE_1)
	v_fma_f64 v[6:7], v[6:7], v[16:17], s[34:35]
	v_ldexp_f64 v[16:17], v[4:5], 1
	v_add_f64 v[4:5], v[4:5], -v[14:15]
	s_waitcnt lgkmcnt(0)
	s_add_i32 s35, s4, -1
	s_cmp_gt_u32 s35, 1
	s_cselect_b32 s11, -1, 0
	s_cmp_lg_u32 s4, 0
	s_cselect_b32 s48, -1, 0
	s_add_u32 s0, s0, 0xf4
	s_addc_u32 s1, s1, 0
	s_min_u32 s45, s35, 15
	s_cmp_gt_u32 s4, 1
	s_cselect_b32 s4, -1, 0
	s_xor_b32 s51, s15, 0x80000000
	s_add_i32 s45, s45, 1
	s_delay_alu instid0(SALU_CYCLE_1) | instskip(SKIP_2) | instid1(VALU_DEP_3)
	s_and_b32 s49, s45, 3
	s_cmp_lg_u32 s35, 2
	s_cselect_b32 s50, -1, 0
	v_mul_f64 v[6:7], v[18:19], v[6:7]
	v_cvt_f64_i32_e32 v[18:19], v11
	s_delay_alu instid0(VALU_DEP_3) | instskip(NEXT) | instid1(VALU_DEP_3)
	v_add_f64 v[0:1], v[0:1], -v[4:5]
	v_add_f64 v[14:15], v[16:17], v[6:7]
	s_delay_alu instid0(VALU_DEP_3) | instskip(NEXT) | instid1(VALU_DEP_3)
	v_mul_f64 v[20:21], v[18:19], s[36:37]
	v_ldexp_f64 v[0:1], v[0:1], 1
	s_delay_alu instid0(VALU_DEP_3) | instskip(NEXT) | instid1(VALU_DEP_3)
	v_add_f64 v[4:5], v[14:15], -v[16:17]
	v_fma_f64 v[16:17], v[18:19], s[36:37], -v[20:21]
	s_delay_alu instid0(VALU_DEP_2) | instskip(NEXT) | instid1(VALU_DEP_2)
	v_add_f64 v[4:5], v[6:7], -v[4:5]
	v_fma_f64 v[6:7], v[18:19], s[38:39], v[16:17]
	s_delay_alu instid0(VALU_DEP_2) | instskip(NEXT) | instid1(VALU_DEP_2)
	v_add_f64 v[0:1], v[0:1], v[4:5]
	v_add_f64 v[4:5], v[20:21], v[6:7]
	s_delay_alu instid0(VALU_DEP_2) | instskip(NEXT) | instid1(VALU_DEP_2)
	v_add_f64 v[16:17], v[14:15], v[0:1]
	v_add_f64 v[20:21], v[4:5], -v[20:21]
	s_delay_alu instid0(VALU_DEP_2) | instskip(SKIP_1) | instid1(VALU_DEP_3)
	v_add_f64 v[18:19], v[4:5], v[16:17]
	v_add_f64 v[14:15], v[16:17], -v[14:15]
	v_add_f64 v[6:7], v[6:7], -v[20:21]
	v_lshrrev_b32_e32 v20, 2, v3
	v_add_co_u32 v21, null, 0xbb67ae85, v40
	v_add_f64 v[22:23], v[18:19], -v[4:5]
	v_add_f64 v[0:1], v[0:1], -v[14:15]
	s_delay_alu instid0(VALU_DEP_2) | instskip(SKIP_1) | instid1(VALU_DEP_3)
	v_add_f64 v[24:25], v[18:19], -v[22:23]
	v_add_f64 v[14:15], v[16:17], -v[22:23]
	v_add_f64 v[16:17], v[6:7], v[0:1]
	s_delay_alu instid0(VALU_DEP_3) | instskip(SKIP_2) | instid1(VALU_DEP_3)
	v_add_f64 v[4:5], v[4:5], -v[24:25]
	v_add_co_u32 v24, null, 0x76cf5d0a, v40
	v_add_co_u32 v25, null, 0x32370b8f, v40
	v_add_f64 v[4:5], v[14:15], v[4:5]
	v_add_f64 v[14:15], v[16:17], -v[6:7]
	s_delay_alu instid0(VALU_DEP_2) | instskip(NEXT) | instid1(VALU_DEP_2)
	v_add_f64 v[4:5], v[16:17], v[4:5]
	v_add_f64 v[16:17], v[16:17], -v[14:15]
	v_add_f64 v[0:1], v[0:1], -v[14:15]
	s_delay_alu instid0(VALU_DEP_3) | instskip(NEXT) | instid1(VALU_DEP_3)
	v_add_f64 v[38:39], v[18:19], v[4:5]
	v_add_f64 v[6:7], v[6:7], -v[16:17]
	v_mad_u64_u32 v[16:17], null, 0xcd9e8d57, v12, 0
	s_delay_alu instid0(VALU_DEP_3) | instskip(SKIP_1) | instid1(VALU_DEP_3)
	v_add_f64 v[14:15], v[38:39], -v[18:19]
	v_alignbit_b32 v19, v3, v2, 2
	v_xor3_b32 v3, v8, v17, v20
	v_add_f64 v[0:1], v[0:1], v[6:7]
	s_delay_alu instid0(VALU_DEP_3) | instskip(NEXT) | instid1(VALU_DEP_3)
	v_mad_u64_u32 v[22:23], null, 0xd2511f53, v19, 0
	v_mad_u64_u32 v[17:18], null, 0xd2511f53, v3, 0
	s_delay_alu instid0(VALU_DEP_2) | instskip(SKIP_1) | instid1(VALU_DEP_3)
	v_xor_b32_e32 v11, v23, v9
	v_add_co_u32 v23, null, 0x3c6ef372, v8
	v_xor3_b32 v7, v21, v18, v22
	v_add_co_u32 v22, null, 0x9e3779b9, v8
	s_delay_alu instid0(VALU_DEP_4) | instskip(SKIP_1) | instid1(VALU_DEP_2)
	v_xor_b32_e32 v11, v11, v13
	v_add_f64 v[3:4], v[4:5], -v[14:15]
	v_mad_u64_u32 v[5:6], null, 0xcd9e8d57, v11, 0
	v_mad_u64_u32 v[14:15], null, 0xcd9e8d57, v7, 0
	s_delay_alu instid0(VALU_DEP_2) | instskip(NEXT) | instid1(VALU_DEP_2)
	v_xor3_b32 v11, v22, v6, v16
	v_xor3_b32 v5, v23, v15, v5
	s_delay_alu instid0(VALU_DEP_2) | instskip(NEXT) | instid1(VALU_DEP_2)
	v_mad_u64_u32 v[6:7], null, 0xd2511f53, v11, 0
	v_mad_u64_u32 v[15:16], null, 0xd2511f53, v5, 0
	s_delay_alu instid0(VALU_DEP_2) | instskip(NEXT) | instid1(VALU_DEP_2)
	v_xor3_b32 v5, v24, v7, v17
	v_xor3_b32 v7, v25, v16, v6
	s_delay_alu instid0(VALU_DEP_2) | instskip(NEXT) | instid1(VALU_DEP_2)
	v_mad_u64_u32 v[17:18], null, 0xcd9e8d57, v5, 0
	v_mad_u64_u32 v[5:6], null, 0xcd9e8d57, v7, 0
	s_delay_alu instid0(VALU_DEP_2) | instskip(NEXT) | instid1(VALU_DEP_2)
	v_xor3_b32 v7, v26, v18, v14
	v_xor3_b32 v6, v28, v6, v17
	v_add_f64 v[0:1], v[0:1], v[3:4]
	s_delay_alu instid0(VALU_DEP_3) | instskip(NEXT) | instid1(VALU_DEP_1)
	v_mad_u64_u32 v[2:3], null, 0xd2511f53, v7, 0
	v_xor3_b32 v11, v30, v3, v15
	s_delay_alu instid0(VALU_DEP_4) | instskip(NEXT) | instid1(VALU_DEP_2)
	v_mad_u64_u32 v[3:4], null, 0xd2511f53, v6, 0
	v_mad_u64_u32 v[6:7], null, 0xcd9e8d57, v11, 0
	s_delay_alu instid0(VALU_DEP_2) | instskip(NEXT) | instid1(VALU_DEP_2)
	v_xor3_b32 v2, v32, v4, v2
	v_xor3_b32 v7, v34, v7, v5
	s_delay_alu instid0(VALU_DEP_2) | instskip(NEXT) | instid1(VALU_DEP_2)
	v_mad_u64_u32 v[4:5], null, 0xcd9e8d57, v2, 0
	v_mad_u64_u32 v[14:15], null, 0xd2511f53, v7, 0
	s_delay_alu instid0(VALU_DEP_2) | instskip(NEXT) | instid1(VALU_DEP_2)
	v_xor3_b32 v5, v35, v5, v6
	v_xor3_b32 v7, v36, v15, v3
	s_delay_alu instid0(VALU_DEP_2) | instskip(SKIP_2) | instid1(VALU_DEP_4)
	v_mad_u64_u32 v[2:3], null, 0xd2511f53, v5, 0
	v_add_f64 v[0:1], v[38:39], v[0:1]
	v_add_co_u32 v38, null, 0xf1bbcdc8, v8
	v_mad_u64_u32 v[5:6], null, 0xcd9e8d57, v7, 0
	v_add_co_u32 v39, null, 0xdb3d7428, v40
	v_mov_b32_e32 v40, v12
	v_xor3_b32 v7, v37, v3, v14
	s_delay_alu instid0(VALU_DEP_4) | instskip(NEXT) | instid1(VALU_DEP_2)
	v_xor3_b32 v6, v33, v6, v4
	v_mad_u64_u32 v[3:4], null, 0xcd9e8d57, v7, 0
	s_delay_alu instid0(VALU_DEP_2) | instskip(NEXT) | instid1(VALU_DEP_2)
	v_mad_u64_u32 v[14:15], null, 0xd2511f53, v6, 0
	v_xor3_b32 v4, v38, v4, v5
	s_delay_alu instid0(VALU_DEP_2) | instskip(NEXT) | instid1(VALU_DEP_2)
	v_xor3_b32 v2, v39, v15, v2
	v_mad_u64_u32 v[6:7], null, 0xd2511f53, v4, 0
	s_delay_alu instid0(VALU_DEP_2) | instskip(NEXT) | instid1(VALU_DEP_1)
	v_mad_u64_u32 v[4:5], null, 0xcd9e8d57, v2, 0
	v_xor3_b32 v3, v5, v3, v29
	v_cndmask_b32_e64 v1, v1, s51, s44
	v_cndmask_b32_e64 v0, v0, s14, s44
	s_and_b32 s51, s45, 28
	s_cmp_lg_u32 s49, 0
	s_delay_alu instid0(VALU_DEP_2) | instskip(SKIP_3) | instid1(VALU_DEP_1)
	v_cndmask_b32_e32 v1, 0x7ff80000, v1, vcc_lo
	v_cmp_nge_f64_e64 vcc_lo, s[14:15], 1.0
	v_add_nc_u32_e32 v31, 0x96a522ad, v9
	s_cselect_b32 s52, -1, 0
	v_xor3_b32 v5, v7, v14, v31
	v_cndmask_b32_e32 v14, 0, v0, vcc_lo
	v_cmp_neq_f64_e64 vcc_lo, s[14:15], 1.0
	v_cndmask_b32_e32 v15, 0xfff00000, v1, vcc_lo
	s_branch .LBB21_9
.LBB21_7:                               ;   in Loop: Header=BB21_9 Depth=1
	v_lshrrev_b32_e32 v4, 11, v6
	s_mov_b32 s35, s19
	s_delay_alu instid0(VALU_DEP_1) | instskip(SKIP_1) | instid1(VALU_DEP_2)
	v_cvt_f64_u32_e32 v[6:7], v4
	v_cvt_f64_u32_e32 v[4:5], v5
	v_ldexp_f64 v[6:7], v[6:7], 32
	s_delay_alu instid0(VALU_DEP_1) | instskip(NEXT) | instid1(VALU_DEP_1)
	v_add_f64 v[4:5], v[6:7], v[4:5]
	v_fma_f64 v[4:5], 0x3ca00000, v[4:5], 0x3ca00000
	s_delay_alu instid0(VALU_DEP_1) | instskip(NEXT) | instid1(VALU_DEP_1)
	v_frexp_mant_f64_e32 v[6:7], v[4:5]
	v_cmp_gt_f64_e32 vcc_lo, s[18:19], v[6:7]
	v_cndmask_b32_e64 v11, 0x3ff00000, 2.0, vcc_lo
	s_delay_alu instid0(VALU_DEP_1) | instskip(SKIP_1) | instid1(VALU_DEP_2)
	v_mul_f64 v[6:7], v[6:7], v[10:11]
	v_frexp_exp_i32_f64_e32 v11, v[4:5]
	v_add_f64 v[17:18], v[6:7], 1.0
	v_add_f64 v[46:47], v[6:7], -1.0
	s_delay_alu instid0(VALU_DEP_3) | instskip(SKIP_1) | instid1(VALU_DEP_4)
	v_subrev_co_ci_u32_e32 v11, vcc_lo, 0, v11, vcc_lo
	v_cmp_eq_f64_e32 vcc_lo, 0x7ff00000, v[4:5]
	v_rcp_f64_e32 v[42:43], v[17:18]
	v_add_f64 v[48:49], v[17:18], -1.0
	s_delay_alu instid0(VALU_DEP_1) | instskip(SKIP_2) | instid1(VALU_DEP_1)
	v_add_f64 v[6:7], v[6:7], -v[48:49]
	s_waitcnt_depctr 0xfff
	v_fma_f64 v[44:45], -v[17:18], v[42:43], 1.0
	v_fma_f64 v[42:43], v[44:45], v[42:43], v[42:43]
	s_delay_alu instid0(VALU_DEP_1) | instskip(NEXT) | instid1(VALU_DEP_1)
	v_fma_f64 v[44:45], -v[17:18], v[42:43], 1.0
	v_fma_f64 v[42:43], v[44:45], v[42:43], v[42:43]
	s_delay_alu instid0(VALU_DEP_1) | instskip(NEXT) | instid1(VALU_DEP_1)
	v_mul_f64 v[44:45], v[46:47], v[42:43]
	v_mul_f64 v[50:51], v[17:18], v[44:45]
	s_delay_alu instid0(VALU_DEP_1) | instskip(NEXT) | instid1(VALU_DEP_1)
	v_fma_f64 v[17:18], v[44:45], v[17:18], -v[50:51]
	v_fma_f64 v[6:7], v[44:45], v[6:7], v[17:18]
	s_delay_alu instid0(VALU_DEP_1) | instskip(NEXT) | instid1(VALU_DEP_1)
	v_add_f64 v[17:18], v[50:51], v[6:7]
	v_add_f64 v[48:49], v[46:47], -v[17:18]
	v_add_f64 v[50:51], v[17:18], -v[50:51]
	s_delay_alu instid0(VALU_DEP_2) | instskip(NEXT) | instid1(VALU_DEP_2)
	v_add_f64 v[46:47], v[46:47], -v[48:49]
	v_add_f64 v[6:7], v[50:51], -v[6:7]
	s_delay_alu instid0(VALU_DEP_2) | instskip(NEXT) | instid1(VALU_DEP_1)
	v_add_f64 v[17:18], v[46:47], -v[17:18]
	v_add_f64 v[6:7], v[6:7], v[17:18]
	s_delay_alu instid0(VALU_DEP_1) | instskip(NEXT) | instid1(VALU_DEP_1)
	v_add_f64 v[6:7], v[48:49], v[6:7]
	v_mul_f64 v[6:7], v[42:43], v[6:7]
	s_delay_alu instid0(VALU_DEP_1) | instskip(NEXT) | instid1(VALU_DEP_1)
	v_add_f64 v[17:18], v[44:45], v[6:7]
	v_mul_f64 v[42:43], v[17:18], v[17:18]
	s_delay_alu instid0(VALU_DEP_1) | instskip(SKIP_1) | instid1(VALU_DEP_2)
	v_fma_f64 v[46:47], v[42:43], s[22:23], s[20:21]
	v_mul_f64 v[48:49], v[17:18], v[42:43]
	v_fma_f64 v[46:47], v[42:43], v[46:47], s[24:25]
	s_delay_alu instid0(VALU_DEP_1) | instskip(NEXT) | instid1(VALU_DEP_1)
	v_fma_f64 v[46:47], v[42:43], v[46:47], s[26:27]
	v_fma_f64 v[46:47], v[42:43], v[46:47], s[28:29]
	s_delay_alu instid0(VALU_DEP_1) | instskip(NEXT) | instid1(VALU_DEP_1)
	v_fma_f64 v[46:47], v[42:43], v[46:47], s[30:31]
	v_fma_f64 v[42:43], v[42:43], v[46:47], s[34:35]
	v_ldexp_f64 v[46:47], v[17:18], 1
	v_add_f64 v[17:18], v[17:18], -v[44:45]
	s_delay_alu instid0(VALU_DEP_3) | instskip(SKIP_1) | instid1(VALU_DEP_3)
	v_mul_f64 v[42:43], v[48:49], v[42:43]
	v_cvt_f64_i32_e32 v[48:49], v11
	v_add_f64 v[6:7], v[6:7], -v[17:18]
	s_delay_alu instid0(VALU_DEP_3) | instskip(NEXT) | instid1(VALU_DEP_3)
	v_add_f64 v[44:45], v[46:47], v[42:43]
	v_mul_f64 v[50:51], v[48:49], s[36:37]
	s_delay_alu instid0(VALU_DEP_3) | instskip(NEXT) | instid1(VALU_DEP_3)
	v_ldexp_f64 v[6:7], v[6:7], 1
	v_add_f64 v[17:18], v[44:45], -v[46:47]
	s_delay_alu instid0(VALU_DEP_3) | instskip(NEXT) | instid1(VALU_DEP_2)
	v_fma_f64 v[46:47], v[48:49], s[36:37], -v[50:51]
	v_add_f64 v[17:18], v[42:43], -v[17:18]
	s_delay_alu instid0(VALU_DEP_2) | instskip(NEXT) | instid1(VALU_DEP_2)
	v_fma_f64 v[42:43], v[48:49], s[38:39], v[46:47]
	v_add_f64 v[6:7], v[6:7], v[17:18]
	s_delay_alu instid0(VALU_DEP_2) | instskip(NEXT) | instid1(VALU_DEP_2)
	v_add_f64 v[17:18], v[50:51], v[42:43]
	v_add_f64 v[46:47], v[44:45], v[6:7]
	s_delay_alu instid0(VALU_DEP_2) | instskip(NEXT) | instid1(VALU_DEP_2)
	v_add_f64 v[50:51], v[17:18], -v[50:51]
	v_add_f64 v[48:49], v[17:18], v[46:47]
	v_add_f64 v[44:45], v[46:47], -v[44:45]
	s_delay_alu instid0(VALU_DEP_3) | instskip(NEXT) | instid1(VALU_DEP_3)
	v_add_f64 v[42:43], v[42:43], -v[50:51]
	v_add_f64 v[52:53], v[48:49], -v[17:18]
	s_delay_alu instid0(VALU_DEP_3) | instskip(NEXT) | instid1(VALU_DEP_2)
	v_add_f64 v[6:7], v[6:7], -v[44:45]
	v_add_f64 v[54:55], v[48:49], -v[52:53]
	;; [unrolled: 1-line block ×3, first 2 shown]
	s_delay_alu instid0(VALU_DEP_3) | instskip(NEXT) | instid1(VALU_DEP_3)
	v_add_f64 v[46:47], v[42:43], v[6:7]
	v_add_f64 v[17:18], v[17:18], -v[54:55]
	s_delay_alu instid0(VALU_DEP_1) | instskip(NEXT) | instid1(VALU_DEP_3)
	v_add_f64 v[17:18], v[44:45], v[17:18]
	v_add_f64 v[44:45], v[46:47], -v[42:43]
	s_delay_alu instid0(VALU_DEP_2) | instskip(NEXT) | instid1(VALU_DEP_2)
	v_add_f64 v[17:18], v[46:47], v[17:18]
	v_add_f64 v[46:47], v[46:47], -v[44:45]
	v_add_f64 v[6:7], v[6:7], -v[44:45]
	s_delay_alu instid0(VALU_DEP_3) | instskip(NEXT) | instid1(VALU_DEP_3)
	v_add_f64 v[50:51], v[48:49], v[17:18]
	v_add_f64 v[42:43], v[42:43], -v[46:47]
	s_delay_alu instid0(VALU_DEP_2) | instskip(NEXT) | instid1(VALU_DEP_2)
	v_add_f64 v[44:45], v[50:51], -v[48:49]
	v_add_f64 v[6:7], v[6:7], v[42:43]
	s_delay_alu instid0(VALU_DEP_2) | instskip(NEXT) | instid1(VALU_DEP_1)
	v_add_f64 v[17:18], v[17:18], -v[44:45]
	v_add_f64 v[6:7], v[6:7], v[17:18]
	s_delay_alu instid0(VALU_DEP_1) | instskip(NEXT) | instid1(VALU_DEP_1)
	v_add_f64 v[6:7], v[50:51], v[6:7]
	v_dual_cndmask_b32 v6, v6, v4 :: v_dual_cndmask_b32 v7, v7, v5
	v_cmp_neq_f64_e32 vcc_lo, 0, v[4:5]
	s_delay_alu instid0(VALU_DEP_2) | instskip(NEXT) | instid1(VALU_DEP_3)
	v_cndmask_b32_e32 v5, 0xfff00000, v7, vcc_lo
	v_cndmask_b32_e32 v4, 0, v6, vcc_lo
	s_delay_alu instid0(VALU_DEP_1) | instskip(NEXT) | instid1(VALU_DEP_1)
	v_div_scale_f64 v[6:7], null, v[14:15], v[14:15], v[4:5]
	v_rcp_f64_e32 v[17:18], v[6:7]
	s_waitcnt_depctr 0xfff
	v_fma_f64 v[42:43], -v[6:7], v[17:18], 1.0
	s_delay_alu instid0(VALU_DEP_1) | instskip(NEXT) | instid1(VALU_DEP_1)
	v_fma_f64 v[17:18], v[17:18], v[42:43], v[17:18]
	v_fma_f64 v[42:43], -v[6:7], v[17:18], 1.0
	s_delay_alu instid0(VALU_DEP_1) | instskip(SKIP_1) | instid1(VALU_DEP_1)
	v_fma_f64 v[17:18], v[17:18], v[42:43], v[17:18]
	v_div_scale_f64 v[42:43], vcc_lo, v[4:5], v[14:15], v[4:5]
	v_mul_f64 v[44:45], v[42:43], v[17:18]
	s_delay_alu instid0(VALU_DEP_1) | instskip(NEXT) | instid1(VALU_DEP_1)
	v_fma_f64 v[6:7], -v[6:7], v[44:45], v[42:43]
	v_div_fmas_f64 v[6:7], v[6:7], v[17:18], v[44:45]
	s_delay_alu instid0(VALU_DEP_1) | instskip(NEXT) | instid1(VALU_DEP_1)
	v_div_fixup_f64 v[4:5], v[6:7], v[14:15], v[4:5]
	v_ceil_f64_e32 v[4:5], v[4:5]
	global_store_b64 v3, v[4:5], s[12:13]
.LBB21_8:                               ;   in Loop: Header=BB21_9 Depth=1
	s_or_b32 exec_lo, exec_lo, s53
	v_add_co_u32 v12, vcc_lo, v12, s46
	v_add_co_ci_u32_e32 v13, vcc_lo, 0, v13, vcc_lo
	v_mov_b32_e32 v3, v16
	s_waitcnt_vscnt null, 0x0
	s_barrier
	s_delay_alu instid0(VALU_DEP_2)
	v_cmp_le_i64_e32 vcc_lo, s[2:3], v[12:13]
	buffer_gl0_inv
	v_mov_b32_e32 v6, v3
	v_dual_mov_b32 v5, v2 :: v_dual_mov_b32 v4, v1
	v_mov_b32_e32 v3, v0
	s_or_b32 s47, vcc_lo, s47
	s_delay_alu instid0(SALU_CYCLE_1)
	s_and_not1_b32 exec_lo, exec_lo, s47
	s_cbranch_execz .LBB21_48
.LBB21_9:                               ; =>This Loop Header: Depth=1
                                        ;     Child Loop BB21_24 Depth 2
                                        ;     Child Loop BB21_29 Depth 2
	;; [unrolled: 1-line block ×4, first 2 shown]
	v_add_co_u32 v19, vcc_lo, v19, 1
	s_delay_alu instid0(VALU_DEP_1) | instskip(SKIP_2) | instid1(VALU_DEP_1)
	v_cndmask_b32_e64 v0, 0, 1, vcc_lo
	v_add_co_ci_u32_e32 v20, vcc_lo, 0, v20, vcc_lo
	s_mov_b32 s14, exec_lo
	v_cmp_eq_u32_e32 vcc_lo, 0, v20
	s_delay_alu instid0(VALU_DEP_3) | instskip(NEXT) | instid1(VALU_DEP_1)
	v_cndmask_b32_e32 v0, 0, v0, vcc_lo
	v_add_nc_u32_e32 v40, v0, v40
	s_delay_alu instid0(VALU_DEP_1) | instskip(SKIP_2) | instid1(VALU_DEP_2)
	v_cmp_eq_u32_e32 vcc_lo, 0, v40
	v_mad_u64_u32 v[16:17], null, 0xcd9e8d57, v40, 0
	v_cndmask_b32_e32 v0, 0, v0, vcc_lo
	v_xor3_b32 v7, v17, v8, v20
	s_delay_alu instid0(VALU_DEP_2) | instskip(SKIP_1) | instid1(VALU_DEP_1)
	v_add_nc_u32_e32 v41, v0, v41
	v_mad_u64_u32 v[0:1], null, 0xd2511f53, v19, 0
	v_xor_b32_e32 v1, v1, v9
	s_delay_alu instid0(VALU_DEP_1) | instskip(SKIP_1) | instid1(VALU_DEP_2)
	v_xor_b32_e32 v11, v41, v1
	v_mad_u64_u32 v[1:2], null, 0xd2511f53, v7, 0
	v_mad_u64_u32 v[17:18], null, 0xcd9e8d57, v11, 0
	s_delay_alu instid0(VALU_DEP_2) | instskip(NEXT) | instid1(VALU_DEP_2)
	v_xor3_b32 v0, v21, v2, v0
	v_xor3_b32 v2, v22, v18, v16
	s_delay_alu instid0(VALU_DEP_2) | instskip(NEXT) | instid1(VALU_DEP_2)
	v_mad_u64_u32 v[42:43], null, 0xcd9e8d57, v0, 0
	v_mad_u64_u32 v[44:45], null, 0xd2511f53, v2, 0
	s_delay_alu instid0(VALU_DEP_2) | instskip(NEXT) | instid1(VALU_DEP_2)
	v_xor3_b32 v2, v23, v43, v17
	v_xor3_b32 v7, v24, v45, v1
	s_delay_alu instid0(VALU_DEP_2) | instskip(NEXT) | instid1(VALU_DEP_2)
	;; [unrolled: 6-line block ×8, first 2 shown]
	v_mad_u64_u32 v[16:17], null, 0xd2511f53, v0, 0
	v_mad_u64_u32 v[1:2], null, 0xcd9e8d57, v7, 0
	s_delay_alu instid0(VALU_DEP_2) | instskip(NEXT) | instid1(VALU_DEP_2)
	v_xor3_b32 v7, v17, v44, v31
	v_xor3_b32 v0, v2, v42, v29
	s_delay_alu instid0(VALU_DEP_2)
	v_mov_b32_e32 v2, v7
	v_cmpx_lt_i32_e32 1, v27
	s_xor_b32 s14, exec_lo, s14
	s_cbranch_execnz .LBB21_12
; %bb.10:                               ;   in Loop: Header=BB21_9 Depth=1
	s_and_not1_saveexec_b32 s14, s14
	s_cbranch_execnz .LBB21_17
.LBB21_11:                              ;   in Loop: Header=BB21_9 Depth=1
	s_or_b32 exec_lo, exec_lo, s14
	s_delay_alu instid0(SALU_CYCLE_1)
	s_mov_b32 s53, exec_lo
	v_cmpx_gt_i64_e64 s[16:17], v[12:13]
	s_cbranch_execnz .LBB21_20
	s_branch .LBB21_34
.LBB21_12:                              ;   in Loop: Header=BB21_9 Depth=1
	s_mov_b32 s15, exec_lo
	v_cmpx_lt_i32_e32 2, v27
	s_xor_b32 s15, exec_lo, s15
; %bb.13:                               ;   in Loop: Header=BB21_9 Depth=1
	v_dual_mov_b32 v4, v6 :: v_dual_mov_b32 v5, v0
	v_mov_b32_e32 v6, v1
	s_delay_alu instid0(VALU_DEP_2) | instskip(NEXT) | instid1(VALU_DEP_3)
	v_mov_b32_e32 v3, v4
	v_mov_b32_e32 v4, v5
	s_delay_alu instid0(VALU_DEP_3)
	v_mov_b32_e32 v5, v6
	v_mov_b32_e32 v6, v7
; %bb.14:                               ;   in Loop: Header=BB21_9 Depth=1
	s_and_not1_saveexec_b32 s15, s15
; %bb.15:                               ;   in Loop: Header=BB21_9 Depth=1
	s_delay_alu instid0(VALU_DEP_1)
	v_dual_mov_b32 v3, v5 :: v_dual_mov_b32 v4, v6
	v_dual_mov_b32 v5, v0 :: v_dual_mov_b32 v6, v1
; %bb.16:                               ;   in Loop: Header=BB21_9 Depth=1
	s_or_b32 exec_lo, exec_lo, s15
	s_and_not1_saveexec_b32 s14, s14
	s_cbranch_execz .LBB21_11
.LBB21_17:                              ;   in Loop: Header=BB21_9 Depth=1
	s_mov_b32 s15, exec_lo
	v_cmpx_eq_u32_e32 1, v27
; %bb.18:                               ;   in Loop: Header=BB21_9 Depth=1
	v_dual_mov_b32 v3, v4 :: v_dual_mov_b32 v4, v5
	v_dual_mov_b32 v5, v6 :: v_dual_mov_b32 v6, v0
; %bb.19:                               ;   in Loop: Header=BB21_9 Depth=1
	s_or_b32 exec_lo, exec_lo, s15
	s_delay_alu instid0(SALU_CYCLE_1) | instskip(NEXT) | instid1(SALU_CYCLE_1)
	s_or_b32 exec_lo, exec_lo, s14
	s_mov_b32 s53, exec_lo
	v_cmpx_gt_i64_e64 s[16:17], v[12:13]
	s_cbranch_execz .LBB21_34
.LBB21_20:                              ;   in Loop: Header=BB21_9 Depth=1
	s_and_not1_b32 vcc_lo, exec_lo, s11
	s_cbranch_vccnz .LBB21_26
; %bb.21:                               ;   in Loop: Header=BB21_9 Depth=1
	v_mov_b32_e32 v7, 0
	s_and_not1_b32 vcc_lo, exec_lo, s48
	s_cbranch_vccnz .LBB21_30
; %bb.22:                               ;   in Loop: Header=BB21_9 Depth=1
	s_and_not1_b32 vcc_lo, exec_lo, s50
	s_mov_b32 s14, 0
	s_cbranch_vccnz .LBB21_27
; %bb.23:                               ;   in Loop: Header=BB21_9 Depth=1
	v_mov_b32_e32 v7, 0
	v_mov_b32_e32 v11, v12
	s_mov_b32 s35, 0
	s_mov_b64 s[14:15], s[42:43]
	s_mov_b64 s[44:45], s[0:1]
.LBB21_24:                              ;   Parent Loop BB21_9 Depth=1
                                        ; =>  This Inner Loop Header: Depth=2
	s_clause 0x1
	s_load_b256 s[56:63], s[14:15], 0x4
	s_load_b128 s[64:67], s[14:15], 0x24
	s_load_b128 s[68:71], s[44:45], 0x0
	s_add_u32 s14, s14, 48
	s_addc_u32 s15, s15, 0
	s_add_i32 s35, s35, 4
	s_add_u32 s44, s44, 16
	s_addc_u32 s45, s45, 0
	s_cmp_lg_u32 s51, s35
	s_waitcnt lgkmcnt(0)
	v_mul_hi_u32 v17, s57, v11
	s_delay_alu instid0(VALU_DEP_1) | instskip(NEXT) | instid1(VALU_DEP_1)
	v_add_nc_u32_e32 v17, v11, v17
	v_lshrrev_b32_e32 v17, s58, v17
	s_delay_alu instid0(VALU_DEP_1) | instskip(SKIP_1) | instid1(VALU_DEP_2)
	v_mul_hi_u32 v18, s60, v17
	v_mul_lo_u32 v44, v17, s56
	v_add_nc_u32_e32 v18, v17, v18
	s_delay_alu instid0(VALU_DEP_2) | instskip(NEXT) | instid1(VALU_DEP_2)
	v_sub_nc_u32_e32 v44, v11, v44
	v_lshrrev_b32_e32 v18, s61, v18
	s_delay_alu instid0(VALU_DEP_2) | instskip(NEXT) | instid1(VALU_DEP_2)
	v_mul_lo_u32 v44, v44, s68
	v_mul_hi_u32 v42, s63, v18
	v_mul_lo_u32 v45, v18, s59
	s_delay_alu instid0(VALU_DEP_2) | instskip(NEXT) | instid1(VALU_DEP_2)
	v_add_nc_u32_e32 v42, v18, v42
	v_sub_nc_u32_e32 v17, v17, v45
	s_delay_alu instid0(VALU_DEP_2) | instskip(NEXT) | instid1(VALU_DEP_2)
	v_lshrrev_b32_e32 v42, s64, v42
	v_mul_lo_u32 v17, v17, s69
	s_delay_alu instid0(VALU_DEP_2) | instskip(NEXT) | instid1(VALU_DEP_2)
	v_mul_hi_u32 v43, s66, v42
	v_add3_u32 v7, v44, v7, v17
	s_delay_alu instid0(VALU_DEP_2) | instskip(NEXT) | instid1(VALU_DEP_1)
	v_add_nc_u32_e32 v43, v42, v43
	v_lshrrev_b32_e32 v11, s67, v43
	v_mul_lo_u32 v43, v42, s62
	s_delay_alu instid0(VALU_DEP_2) | instskip(NEXT) | instid1(VALU_DEP_2)
	v_mul_lo_u32 v46, v11, s65
	v_sub_nc_u32_e32 v18, v18, v43
	s_delay_alu instid0(VALU_DEP_2) | instskip(NEXT) | instid1(VALU_DEP_2)
	v_sub_nc_u32_e32 v42, v42, v46
	v_mul_lo_u32 v18, v18, s70
	s_delay_alu instid0(VALU_DEP_2) | instskip(NEXT) | instid1(VALU_DEP_1)
	v_mul_lo_u32 v42, v42, s71
	v_add3_u32 v7, v18, v7, v42
	s_cbranch_scc1 .LBB21_24
; %bb.25:                               ;   in Loop: Header=BB21_9 Depth=1
	s_mov_b32 s14, s51
	s_and_not1_b32 vcc_lo, exec_lo, s52
	s_cbranch_vccz .LBB21_28
	s_branch .LBB21_30
.LBB21_26:                              ;   in Loop: Header=BB21_9 Depth=1
                                        ; implicit-def: $vgpr7
	s_branch .LBB21_31
.LBB21_27:                              ;   in Loop: Header=BB21_9 Depth=1
	v_mov_b32_e32 v11, v12
	s_and_not1_b32 vcc_lo, exec_lo, s52
	s_cbranch_vccnz .LBB21_30
.LBB21_28:                              ;   in Loop: Header=BB21_9 Depth=1
	s_lshl_b32 s15, s14, 2
	s_mul_i32 s35, s14, 12
	s_add_u32 s14, s0, s15
	s_addc_u32 s15, s1, 0
	s_add_u32 s44, s42, s35
	s_addc_u32 s45, s43, 0
	s_mov_b32 s35, s49
	.p2align	6
.LBB21_29:                              ;   Parent Loop BB21_9 Depth=1
                                        ; =>  This Inner Loop Header: Depth=2
	s_clause 0x1
	s_load_b64 s[54:55], s[44:45], 0x4
	s_load_b32 s56, s[44:45], 0xc
	s_add_u32 s44, s44, 12
	s_addc_u32 s45, s45, 0
	s_waitcnt lgkmcnt(0)
	v_mul_hi_u32 v17, s55, v11
	s_load_b32 s55, s[14:15], 0x0
	s_add_u32 s14, s14, 4
	s_addc_u32 s15, s15, 0
	s_add_i32 s35, s35, -1
	s_delay_alu instid0(SALU_CYCLE_1) | instskip(NEXT) | instid1(VALU_DEP_1)
	s_cmp_lg_u32 s35, 0
	v_add_nc_u32_e32 v17, v11, v17
	s_delay_alu instid0(VALU_DEP_1) | instskip(NEXT) | instid1(VALU_DEP_1)
	v_lshrrev_b32_e32 v42, s56, v17
	v_mul_lo_u32 v17, v42, s54
	s_delay_alu instid0(VALU_DEP_1) | instskip(SKIP_1) | instid1(VALU_DEP_1)
	v_sub_nc_u32_e32 v11, v11, v17
	s_waitcnt lgkmcnt(0)
	v_mad_u64_u32 v[17:18], null, v11, s55, v[7:8]
	v_mov_b32_e32 v11, v42
	s_delay_alu instid0(VALU_DEP_2)
	v_mov_b32_e32 v7, v17
	s_cbranch_scc1 .LBB21_29
.LBB21_30:                              ;   in Loop: Header=BB21_9 Depth=1
	s_cbranch_execnz .LBB21_33
.LBB21_31:                              ;   in Loop: Header=BB21_9 Depth=1
	v_mul_hi_u32 v7, v12, s6
	s_and_not1_b32 vcc_lo, exec_lo, s4
	s_delay_alu instid0(VALU_DEP_1) | instskip(NEXT) | instid1(VALU_DEP_1)
	v_add_nc_u32_e32 v7, v7, v12
	v_lshrrev_b32_e32 v11, s7, v7
	s_delay_alu instid0(VALU_DEP_1) | instskip(NEXT) | instid1(VALU_DEP_1)
	v_mul_lo_u32 v7, v11, s5
	v_sub_nc_u32_e32 v7, v12, v7
	s_delay_alu instid0(VALU_DEP_1)
	v_mul_lo_u32 v7, v7, s40
	s_cbranch_vccnz .LBB21_33
; %bb.32:                               ;   in Loop: Header=BB21_9 Depth=1
	v_mul_hi_u32 v17, s9, v11
	s_delay_alu instid0(VALU_DEP_1) | instskip(NEXT) | instid1(VALU_DEP_1)
	v_add_nc_u32_e32 v17, v11, v17
	v_lshrrev_b32_e32 v17, s10, v17
	s_delay_alu instid0(VALU_DEP_1) | instskip(NEXT) | instid1(VALU_DEP_1)
	v_mul_lo_u32 v17, v17, s8
	v_sub_nc_u32_e32 v11, v11, v17
	s_delay_alu instid0(VALU_DEP_1) | instskip(NEXT) | instid1(VALU_DEP_1)
	v_mad_u64_u32 v[17:18], null, v11, s41, v[7:8]
	v_mov_b32_e32 v7, v17
.LBB21_33:                              ;   in Loop: Header=BB21_9 Depth=1
	v_lshrrev_b32_e32 v4, 11, v4
	s_mov_b32 s35, s19
	s_delay_alu instid0(VALU_DEP_1) | instskip(SKIP_1) | instid1(VALU_DEP_2)
	v_cvt_f64_u32_e32 v[17:18], v4
	v_cvt_f64_u32_e32 v[3:4], v3
	v_ldexp_f64 v[17:18], v[17:18], 32
	s_delay_alu instid0(VALU_DEP_1) | instskip(NEXT) | instid1(VALU_DEP_1)
	v_add_f64 v[3:4], v[17:18], v[3:4]
	v_fma_f64 v[3:4], 0x3ca00000, v[3:4], 0x3ca00000
	s_delay_alu instid0(VALU_DEP_1) | instskip(NEXT) | instid1(VALU_DEP_1)
	v_frexp_mant_f64_e32 v[17:18], v[3:4]
	v_cmp_gt_f64_e32 vcc_lo, s[18:19], v[17:18]
	v_cndmask_b32_e64 v11, 0x3ff00000, 2.0, vcc_lo
	s_delay_alu instid0(VALU_DEP_1) | instskip(SKIP_1) | instid1(VALU_DEP_2)
	v_mul_f64 v[17:18], v[17:18], v[10:11]
	v_frexp_exp_i32_f64_e32 v11, v[3:4]
	v_add_f64 v[42:43], v[17:18], 1.0
	v_add_f64 v[48:49], v[17:18], -1.0
	s_delay_alu instid0(VALU_DEP_3) | instskip(SKIP_1) | instid1(VALU_DEP_4)
	v_subrev_co_ci_u32_e32 v11, vcc_lo, 0, v11, vcc_lo
	v_cmp_eq_f64_e32 vcc_lo, 0x7ff00000, v[3:4]
	v_rcp_f64_e32 v[44:45], v[42:43]
	v_add_f64 v[50:51], v[42:43], -1.0
	s_delay_alu instid0(VALU_DEP_1) | instskip(SKIP_2) | instid1(VALU_DEP_1)
	v_add_f64 v[17:18], v[17:18], -v[50:51]
	s_waitcnt_depctr 0xfff
	v_fma_f64 v[46:47], -v[42:43], v[44:45], 1.0
	v_fma_f64 v[44:45], v[46:47], v[44:45], v[44:45]
	s_delay_alu instid0(VALU_DEP_1) | instskip(NEXT) | instid1(VALU_DEP_1)
	v_fma_f64 v[46:47], -v[42:43], v[44:45], 1.0
	v_fma_f64 v[44:45], v[46:47], v[44:45], v[44:45]
	s_delay_alu instid0(VALU_DEP_1) | instskip(NEXT) | instid1(VALU_DEP_1)
	v_mul_f64 v[46:47], v[48:49], v[44:45]
	v_mul_f64 v[52:53], v[42:43], v[46:47]
	s_delay_alu instid0(VALU_DEP_1) | instskip(NEXT) | instid1(VALU_DEP_1)
	v_fma_f64 v[42:43], v[46:47], v[42:43], -v[52:53]
	v_fma_f64 v[17:18], v[46:47], v[17:18], v[42:43]
	s_delay_alu instid0(VALU_DEP_1) | instskip(NEXT) | instid1(VALU_DEP_1)
	v_add_f64 v[42:43], v[52:53], v[17:18]
	v_add_f64 v[50:51], v[48:49], -v[42:43]
	v_add_f64 v[52:53], v[42:43], -v[52:53]
	s_delay_alu instid0(VALU_DEP_2) | instskip(NEXT) | instid1(VALU_DEP_2)
	v_add_f64 v[48:49], v[48:49], -v[50:51]
	v_add_f64 v[17:18], v[52:53], -v[17:18]
	s_delay_alu instid0(VALU_DEP_2) | instskip(NEXT) | instid1(VALU_DEP_1)
	v_add_f64 v[42:43], v[48:49], -v[42:43]
	v_add_f64 v[17:18], v[17:18], v[42:43]
	s_delay_alu instid0(VALU_DEP_1) | instskip(NEXT) | instid1(VALU_DEP_1)
	v_add_f64 v[17:18], v[50:51], v[17:18]
	v_mul_f64 v[17:18], v[44:45], v[17:18]
	s_delay_alu instid0(VALU_DEP_1) | instskip(NEXT) | instid1(VALU_DEP_1)
	v_add_f64 v[42:43], v[46:47], v[17:18]
	v_mul_f64 v[44:45], v[42:43], v[42:43]
	s_delay_alu instid0(VALU_DEP_1) | instskip(SKIP_1) | instid1(VALU_DEP_2)
	v_fma_f64 v[48:49], v[44:45], s[22:23], s[20:21]
	v_mul_f64 v[50:51], v[42:43], v[44:45]
	v_fma_f64 v[48:49], v[44:45], v[48:49], s[24:25]
	s_delay_alu instid0(VALU_DEP_1) | instskip(NEXT) | instid1(VALU_DEP_1)
	v_fma_f64 v[48:49], v[44:45], v[48:49], s[26:27]
	v_fma_f64 v[48:49], v[44:45], v[48:49], s[28:29]
	s_delay_alu instid0(VALU_DEP_1) | instskip(NEXT) | instid1(VALU_DEP_1)
	v_fma_f64 v[48:49], v[44:45], v[48:49], s[30:31]
	v_fma_f64 v[44:45], v[44:45], v[48:49], s[34:35]
	v_ldexp_f64 v[48:49], v[42:43], 1
	v_add_f64 v[42:43], v[42:43], -v[46:47]
	s_delay_alu instid0(VALU_DEP_3) | instskip(SKIP_1) | instid1(VALU_DEP_3)
	v_mul_f64 v[44:45], v[50:51], v[44:45]
	v_cvt_f64_i32_e32 v[50:51], v11
	v_add_f64 v[17:18], v[17:18], -v[42:43]
	s_delay_alu instid0(VALU_DEP_3) | instskip(NEXT) | instid1(VALU_DEP_3)
	v_add_f64 v[46:47], v[48:49], v[44:45]
	v_mul_f64 v[52:53], v[50:51], s[36:37]
	s_delay_alu instid0(VALU_DEP_3) | instskip(NEXT) | instid1(VALU_DEP_3)
	v_ldexp_f64 v[17:18], v[17:18], 1
	v_add_f64 v[42:43], v[46:47], -v[48:49]
	s_delay_alu instid0(VALU_DEP_3) | instskip(NEXT) | instid1(VALU_DEP_2)
	v_fma_f64 v[48:49], v[50:51], s[36:37], -v[52:53]
	v_add_f64 v[42:43], v[44:45], -v[42:43]
	s_delay_alu instid0(VALU_DEP_2) | instskip(NEXT) | instid1(VALU_DEP_2)
	v_fma_f64 v[44:45], v[50:51], s[38:39], v[48:49]
	v_add_f64 v[17:18], v[17:18], v[42:43]
	s_delay_alu instid0(VALU_DEP_2) | instskip(NEXT) | instid1(VALU_DEP_2)
	v_add_f64 v[42:43], v[52:53], v[44:45]
	v_add_f64 v[48:49], v[46:47], v[17:18]
	s_delay_alu instid0(VALU_DEP_2) | instskip(NEXT) | instid1(VALU_DEP_2)
	v_add_f64 v[52:53], v[42:43], -v[52:53]
	v_add_f64 v[50:51], v[42:43], v[48:49]
	v_add_f64 v[46:47], v[48:49], -v[46:47]
	s_delay_alu instid0(VALU_DEP_3) | instskip(NEXT) | instid1(VALU_DEP_3)
	v_add_f64 v[44:45], v[44:45], -v[52:53]
	v_add_f64 v[54:55], v[50:51], -v[42:43]
	s_delay_alu instid0(VALU_DEP_3) | instskip(NEXT) | instid1(VALU_DEP_2)
	v_add_f64 v[17:18], v[17:18], -v[46:47]
	v_add_f64 v[56:57], v[50:51], -v[54:55]
	;; [unrolled: 1-line block ×3, first 2 shown]
	s_delay_alu instid0(VALU_DEP_3) | instskip(NEXT) | instid1(VALU_DEP_3)
	v_add_f64 v[48:49], v[44:45], v[17:18]
	v_add_f64 v[42:43], v[42:43], -v[56:57]
	s_delay_alu instid0(VALU_DEP_1) | instskip(NEXT) | instid1(VALU_DEP_3)
	v_add_f64 v[42:43], v[46:47], v[42:43]
	v_add_f64 v[46:47], v[48:49], -v[44:45]
	s_delay_alu instid0(VALU_DEP_2) | instskip(NEXT) | instid1(VALU_DEP_2)
	v_add_f64 v[42:43], v[48:49], v[42:43]
	v_add_f64 v[48:49], v[48:49], -v[46:47]
	v_add_f64 v[17:18], v[17:18], -v[46:47]
	s_delay_alu instid0(VALU_DEP_3) | instskip(NEXT) | instid1(VALU_DEP_3)
	v_add_f64 v[52:53], v[50:51], v[42:43]
	v_add_f64 v[44:45], v[44:45], -v[48:49]
	s_delay_alu instid0(VALU_DEP_2) | instskip(NEXT) | instid1(VALU_DEP_2)
	v_add_f64 v[46:47], v[52:53], -v[50:51]
	v_add_f64 v[17:18], v[17:18], v[44:45]
	s_delay_alu instid0(VALU_DEP_2) | instskip(NEXT) | instid1(VALU_DEP_1)
	v_add_f64 v[42:43], v[42:43], -v[46:47]
	v_add_f64 v[17:18], v[17:18], v[42:43]
	s_delay_alu instid0(VALU_DEP_1) | instskip(NEXT) | instid1(VALU_DEP_1)
	v_add_f64 v[17:18], v[52:53], v[17:18]
	v_cndmask_b32_e32 v11, v17, v3, vcc_lo
	s_delay_alu instid0(VALU_DEP_2) | instskip(SKIP_1) | instid1(VALU_DEP_2)
	v_cndmask_b32_e32 v17, v18, v4, vcc_lo
	v_cmp_neq_f64_e32 vcc_lo, 0, v[3:4]
	v_cndmask_b32_e32 v4, 0xfff00000, v17, vcc_lo
	s_delay_alu instid0(VALU_DEP_4) | instskip(NEXT) | instid1(VALU_DEP_1)
	v_cndmask_b32_e32 v3, 0, v11, vcc_lo
	v_div_scale_f64 v[17:18], null, v[14:15], v[14:15], v[3:4]
	s_delay_alu instid0(VALU_DEP_1) | instskip(SKIP_2) | instid1(VALU_DEP_1)
	v_rcp_f64_e32 v[42:43], v[17:18]
	s_waitcnt_depctr 0xfff
	v_fma_f64 v[44:45], -v[17:18], v[42:43], 1.0
	v_fma_f64 v[42:43], v[42:43], v[44:45], v[42:43]
	s_delay_alu instid0(VALU_DEP_1) | instskip(NEXT) | instid1(VALU_DEP_1)
	v_fma_f64 v[44:45], -v[17:18], v[42:43], 1.0
	v_fma_f64 v[42:43], v[42:43], v[44:45], v[42:43]
	v_div_scale_f64 v[44:45], vcc_lo, v[3:4], v[14:15], v[3:4]
	s_delay_alu instid0(VALU_DEP_1) | instskip(NEXT) | instid1(VALU_DEP_1)
	v_mul_f64 v[46:47], v[44:45], v[42:43]
	v_fma_f64 v[17:18], -v[17:18], v[46:47], v[44:45]
	s_delay_alu instid0(VALU_DEP_1) | instskip(NEXT) | instid1(VALU_DEP_1)
	v_div_fmas_f64 v[17:18], v[17:18], v[42:43], v[46:47]
	v_div_fixup_f64 v[3:4], v[17:18], v[14:15], v[3:4]
	s_delay_alu instid0(VALU_DEP_1)
	v_ceil_f64_e32 v[3:4], v[3:4]
	global_store_b64 v7, v[3:4], s[12:13]
.LBB21_34:                              ;   in Loop: Header=BB21_9 Depth=1
	s_or_b32 exec_lo, exec_lo, s53
	v_add_co_u32 v17, vcc_lo, v12, s33
	v_add_co_ci_u32_e32 v18, vcc_lo, 0, v13, vcc_lo
	s_mov_b32 s53, exec_lo
	s_delay_alu instid0(VALU_DEP_1)
	v_cmpx_gt_i64_e64 s[16:17], v[17:18]
	s_cbranch_execz .LBB21_8
; %bb.35:                               ;   in Loop: Header=BB21_9 Depth=1
	s_and_not1_b32 vcc_lo, exec_lo, s11
	s_cbranch_vccnz .LBB21_41
; %bb.36:                               ;   in Loop: Header=BB21_9 Depth=1
	v_mov_b32_e32 v3, 0
	s_and_not1_b32 vcc_lo, exec_lo, s48
	s_cbranch_vccnz .LBB21_45
; %bb.37:                               ;   in Loop: Header=BB21_9 Depth=1
	s_and_not1_b32 vcc_lo, exec_lo, s50
	s_mov_b32 s14, 0
	s_cbranch_vccnz .LBB21_42
; %bb.38:                               ;   in Loop: Header=BB21_9 Depth=1
	v_dual_mov_b32 v3, 0 :: v_dual_mov_b32 v4, v17
	s_mov_b32 s35, 0
	s_mov_b64 s[14:15], s[42:43]
	s_mov_b64 s[44:45], s[0:1]
.LBB21_39:                              ;   Parent Loop BB21_9 Depth=1
                                        ; =>  This Inner Loop Header: Depth=2
	s_clause 0x1
	s_load_b256 s[56:63], s[14:15], 0x4
	s_load_b128 s[64:67], s[14:15], 0x24
	s_load_b128 s[68:71], s[44:45], 0x0
	s_add_u32 s14, s14, 48
	s_addc_u32 s15, s15, 0
	s_add_i32 s35, s35, 4
	s_add_u32 s44, s44, 16
	s_addc_u32 s45, s45, 0
	s_cmp_eq_u32 s51, s35
	s_waitcnt lgkmcnt(0)
	v_mul_hi_u32 v7, s57, v4
	s_delay_alu instid0(VALU_DEP_1) | instskip(NEXT) | instid1(VALU_DEP_1)
	v_add_nc_u32_e32 v7, v4, v7
	v_lshrrev_b32_e32 v7, s58, v7
	s_delay_alu instid0(VALU_DEP_1) | instskip(SKIP_1) | instid1(VALU_DEP_2)
	v_mul_hi_u32 v11, s60, v7
	v_mul_lo_u32 v43, v7, s56
	v_add_nc_u32_e32 v11, v7, v11
	s_delay_alu instid0(VALU_DEP_2) | instskip(NEXT) | instid1(VALU_DEP_2)
	v_sub_nc_u32_e32 v43, v4, v43
	v_lshrrev_b32_e32 v11, s61, v11
	s_delay_alu instid0(VALU_DEP_2) | instskip(NEXT) | instid1(VALU_DEP_2)
	v_mul_lo_u32 v43, v43, s68
	v_mul_hi_u32 v18, s63, v11
	v_mul_lo_u32 v44, v11, s59
	s_delay_alu instid0(VALU_DEP_2) | instskip(NEXT) | instid1(VALU_DEP_2)
	v_add_nc_u32_e32 v18, v11, v18
	v_sub_nc_u32_e32 v7, v7, v44
	s_delay_alu instid0(VALU_DEP_2) | instskip(NEXT) | instid1(VALU_DEP_2)
	v_lshrrev_b32_e32 v18, s64, v18
	v_mul_lo_u32 v7, v7, s69
	s_delay_alu instid0(VALU_DEP_2) | instskip(NEXT) | instid1(VALU_DEP_2)
	v_mul_hi_u32 v42, s66, v18
	v_add3_u32 v3, v43, v3, v7
	s_delay_alu instid0(VALU_DEP_2) | instskip(NEXT) | instid1(VALU_DEP_1)
	v_add_nc_u32_e32 v42, v18, v42
	v_lshrrev_b32_e32 v4, s67, v42
	v_mul_lo_u32 v42, v18, s62
	s_delay_alu instid0(VALU_DEP_2) | instskip(NEXT) | instid1(VALU_DEP_2)
	v_mul_lo_u32 v45, v4, s65
	v_sub_nc_u32_e32 v11, v11, v42
	s_delay_alu instid0(VALU_DEP_2) | instskip(NEXT) | instid1(VALU_DEP_2)
	v_sub_nc_u32_e32 v18, v18, v45
	v_mul_lo_u32 v11, v11, s70
	s_delay_alu instid0(VALU_DEP_2) | instskip(NEXT) | instid1(VALU_DEP_1)
	v_mul_lo_u32 v18, v18, s71
	v_add3_u32 v3, v11, v3, v18
	s_cbranch_scc0 .LBB21_39
; %bb.40:                               ;   in Loop: Header=BB21_9 Depth=1
	s_mov_b32 s14, s51
	s_and_not1_b32 vcc_lo, exec_lo, s52
	s_cbranch_vccz .LBB21_43
	s_branch .LBB21_45
.LBB21_41:                              ;   in Loop: Header=BB21_9 Depth=1
                                        ; implicit-def: $vgpr3
	s_branch .LBB21_46
.LBB21_42:                              ;   in Loop: Header=BB21_9 Depth=1
	v_mov_b32_e32 v4, v17
	s_and_not1_b32 vcc_lo, exec_lo, s52
	s_cbranch_vccnz .LBB21_45
.LBB21_43:                              ;   in Loop: Header=BB21_9 Depth=1
	s_lshl_b32 s15, s14, 2
	s_mul_i32 s35, s14, 12
	s_add_u32 s14, s0, s15
	s_addc_u32 s15, s1, 0
	s_add_u32 s44, s42, s35
	s_addc_u32 s45, s43, 0
	s_mov_b32 s35, s49
	.p2align	6
.LBB21_44:                              ;   Parent Loop BB21_9 Depth=1
                                        ; =>  This Inner Loop Header: Depth=2
	s_clause 0x1
	s_load_b64 s[54:55], s[44:45], 0x4
	s_load_b32 s56, s[44:45], 0xc
	s_add_u32 s44, s44, 12
	s_addc_u32 s45, s45, 0
	s_waitcnt lgkmcnt(0)
	v_mul_hi_u32 v7, s55, v4
	s_load_b32 s55, s[14:15], 0x0
	s_add_u32 s14, s14, 4
	s_addc_u32 s15, s15, 0
	s_add_i32 s35, s35, -1
	s_delay_alu instid0(SALU_CYCLE_1) | instskip(NEXT) | instid1(VALU_DEP_1)
	s_cmp_lg_u32 s35, 0
	v_add_nc_u32_e32 v7, v4, v7
	s_delay_alu instid0(VALU_DEP_1) | instskip(NEXT) | instid1(VALU_DEP_1)
	v_lshrrev_b32_e32 v7, s56, v7
	v_mul_lo_u32 v11, v7, s54
	s_delay_alu instid0(VALU_DEP_1) | instskip(SKIP_1) | instid1(VALU_DEP_1)
	v_sub_nc_u32_e32 v4, v4, v11
	s_waitcnt lgkmcnt(0)
	v_mad_u64_u32 v[42:43], null, v4, s55, v[3:4]
	s_delay_alu instid0(VALU_DEP_1)
	v_dual_mov_b32 v4, v7 :: v_dual_mov_b32 v3, v42
	s_cbranch_scc1 .LBB21_44
.LBB21_45:                              ;   in Loop: Header=BB21_9 Depth=1
	s_cbranch_execnz .LBB21_7
.LBB21_46:                              ;   in Loop: Header=BB21_9 Depth=1
	v_mul_hi_u32 v3, v17, s6
	s_and_not1_b32 vcc_lo, exec_lo, s4
	s_delay_alu instid0(VALU_DEP_1) | instskip(NEXT) | instid1(VALU_DEP_1)
	v_add_nc_u32_e32 v3, v3, v17
	v_lshrrev_b32_e32 v4, s7, v3
	s_delay_alu instid0(VALU_DEP_1) | instskip(NEXT) | instid1(VALU_DEP_1)
	v_mul_lo_u32 v3, v4, s5
	v_sub_nc_u32_e32 v3, v17, v3
	s_delay_alu instid0(VALU_DEP_1)
	v_mul_lo_u32 v3, v3, s40
	s_cbranch_vccnz .LBB21_7
; %bb.47:                               ;   in Loop: Header=BB21_9 Depth=1
	v_mul_hi_u32 v7, s9, v4
	s_delay_alu instid0(VALU_DEP_1) | instskip(NEXT) | instid1(VALU_DEP_1)
	v_add_nc_u32_e32 v7, v4, v7
	v_lshrrev_b32_e32 v7, s10, v7
	s_delay_alu instid0(VALU_DEP_1) | instskip(NEXT) | instid1(VALU_DEP_1)
	v_mul_lo_u32 v7, v7, s8
	v_sub_nc_u32_e32 v4, v4, v7
	s_delay_alu instid0(VALU_DEP_1) | instskip(NEXT) | instid1(VALU_DEP_1)
	v_mad_u64_u32 v[17:18], null, v4, s41, v[3:4]
	v_mov_b32_e32 v3, v17
	s_branch .LBB21_7
.LBB21_48:
	s_endpgm
.LBB21_49:
                                        ; implicit-def: $sgpr2_sgpr3
	s_branch .LBB21_4
	.section	.rodata,"a",@progbits
	.p2align	6, 0x0
	.amdhsa_kernel _ZN2at6native12_GLOBAL__N_143distribution_elementwise_grid_stride_kernelIdLi2EZNS0_9templates4cuda21uniform_and_transformIddPNS_17CUDAGeneratorImplEZZZNS4_16geometric_kernelIS7_EEvRNS_18TensorIteratorBaseEdT_ENKUlvE_clEvENKUlvE4_clEvEUldE_EEvSA_T1_T2_EUlP25hiprandStatePhilox4_32_10E_ZNS1_27distribution_nullary_kernelIdd15HIP_vector_typeIdLj2EES7_SJ_SE_EEvSA_SG_RKT3_T4_EUlidE0_EEvlNS_15PhiloxCudaStateESF_SG_
		.amdhsa_group_segment_fixed_size 0
		.amdhsa_private_segment_fixed_size 0
		.amdhsa_kernarg_size 584
		.amdhsa_user_sgpr_count 15
		.amdhsa_user_sgpr_dispatch_ptr 0
		.amdhsa_user_sgpr_queue_ptr 0
		.amdhsa_user_sgpr_kernarg_segment_ptr 1
		.amdhsa_user_sgpr_dispatch_id 0
		.amdhsa_user_sgpr_private_segment_size 0
		.amdhsa_wavefront_size32 1
		.amdhsa_uses_dynamic_stack 0
		.amdhsa_enable_private_segment 0
		.amdhsa_system_sgpr_workgroup_id_x 1
		.amdhsa_system_sgpr_workgroup_id_y 0
		.amdhsa_system_sgpr_workgroup_id_z 0
		.amdhsa_system_sgpr_workgroup_info 0
		.amdhsa_system_vgpr_workitem_id 0
		.amdhsa_next_free_vgpr 58
		.amdhsa_next_free_sgpr 72
		.amdhsa_reserve_vcc 1
		.amdhsa_float_round_mode_32 0
		.amdhsa_float_round_mode_16_64 0
		.amdhsa_float_denorm_mode_32 3
		.amdhsa_float_denorm_mode_16_64 3
		.amdhsa_dx10_clamp 1
		.amdhsa_ieee_mode 1
		.amdhsa_fp16_overflow 0
		.amdhsa_workgroup_processor_mode 1
		.amdhsa_memory_ordered 1
		.amdhsa_forward_progress 0
		.amdhsa_shared_vgpr_count 0
		.amdhsa_exception_fp_ieee_invalid_op 0
		.amdhsa_exception_fp_denorm_src 0
		.amdhsa_exception_fp_ieee_div_zero 0
		.amdhsa_exception_fp_ieee_overflow 0
		.amdhsa_exception_fp_ieee_underflow 0
		.amdhsa_exception_fp_ieee_inexact 0
		.amdhsa_exception_int_div_zero 0
	.end_amdhsa_kernel
	.section	.text._ZN2at6native12_GLOBAL__N_143distribution_elementwise_grid_stride_kernelIdLi2EZNS0_9templates4cuda21uniform_and_transformIddPNS_17CUDAGeneratorImplEZZZNS4_16geometric_kernelIS7_EEvRNS_18TensorIteratorBaseEdT_ENKUlvE_clEvENKUlvE4_clEvEUldE_EEvSA_T1_T2_EUlP25hiprandStatePhilox4_32_10E_ZNS1_27distribution_nullary_kernelIdd15HIP_vector_typeIdLj2EES7_SJ_SE_EEvSA_SG_RKT3_T4_EUlidE0_EEvlNS_15PhiloxCudaStateESF_SG_,"axG",@progbits,_ZN2at6native12_GLOBAL__N_143distribution_elementwise_grid_stride_kernelIdLi2EZNS0_9templates4cuda21uniform_and_transformIddPNS_17CUDAGeneratorImplEZZZNS4_16geometric_kernelIS7_EEvRNS_18TensorIteratorBaseEdT_ENKUlvE_clEvENKUlvE4_clEvEUldE_EEvSA_T1_T2_EUlP25hiprandStatePhilox4_32_10E_ZNS1_27distribution_nullary_kernelIdd15HIP_vector_typeIdLj2EES7_SJ_SE_EEvSA_SG_RKT3_T4_EUlidE0_EEvlNS_15PhiloxCudaStateESF_SG_,comdat
.Lfunc_end21:
	.size	_ZN2at6native12_GLOBAL__N_143distribution_elementwise_grid_stride_kernelIdLi2EZNS0_9templates4cuda21uniform_and_transformIddPNS_17CUDAGeneratorImplEZZZNS4_16geometric_kernelIS7_EEvRNS_18TensorIteratorBaseEdT_ENKUlvE_clEvENKUlvE4_clEvEUldE_EEvSA_T1_T2_EUlP25hiprandStatePhilox4_32_10E_ZNS1_27distribution_nullary_kernelIdd15HIP_vector_typeIdLj2EES7_SJ_SE_EEvSA_SG_RKT3_T4_EUlidE0_EEvlNS_15PhiloxCudaStateESF_SG_, .Lfunc_end21-_ZN2at6native12_GLOBAL__N_143distribution_elementwise_grid_stride_kernelIdLi2EZNS0_9templates4cuda21uniform_and_transformIddPNS_17CUDAGeneratorImplEZZZNS4_16geometric_kernelIS7_EEvRNS_18TensorIteratorBaseEdT_ENKUlvE_clEvENKUlvE4_clEvEUldE_EEvSA_T1_T2_EUlP25hiprandStatePhilox4_32_10E_ZNS1_27distribution_nullary_kernelIdd15HIP_vector_typeIdLj2EES7_SJ_SE_EEvSA_SG_RKT3_T4_EUlidE0_EEvlNS_15PhiloxCudaStateESF_SG_
                                        ; -- End function
	.section	.AMDGPU.csdata,"",@progbits
; Kernel info:
; codeLenInByte = 6916
; NumSgprs: 74
; NumVgprs: 58
; ScratchSize: 0
; MemoryBound: 0
; FloatMode: 240
; IeeeMode: 1
; LDSByteSize: 0 bytes/workgroup (compile time only)
; SGPRBlocks: 9
; VGPRBlocks: 7
; NumSGPRsForWavesPerEU: 74
; NumVGPRsForWavesPerEU: 58
; Occupancy: 16
; WaveLimiterHint : 1
; COMPUTE_PGM_RSRC2:SCRATCH_EN: 0
; COMPUTE_PGM_RSRC2:USER_SGPR: 15
; COMPUTE_PGM_RSRC2:TRAP_HANDLER: 0
; COMPUTE_PGM_RSRC2:TGID_X_EN: 1
; COMPUTE_PGM_RSRC2:TGID_Y_EN: 0
; COMPUTE_PGM_RSRC2:TGID_Z_EN: 0
; COMPUTE_PGM_RSRC2:TIDIG_COMP_CNT: 0
	.section	.text._ZN2at6native12_GLOBAL__N_143distribution_elementwise_grid_stride_kernelIdLi2EZNS0_9templates4cuda21uniform_and_transformIddPNS_17CUDAGeneratorImplEZZZNS4_16geometric_kernelIS7_EEvRNS_18TensorIteratorBaseEdT_ENKUlvE_clEvENKUlvE4_clEvEUldE_EEvSA_T1_T2_EUlP25hiprandStatePhilox4_32_10E0_ZNS1_27distribution_nullary_kernelIdd15HIP_vector_typeIfLj4EES7_SJ_SE_EEvSA_SG_RKT3_T4_EUlidE_EEvlNS_15PhiloxCudaStateESF_SG_,"axG",@progbits,_ZN2at6native12_GLOBAL__N_143distribution_elementwise_grid_stride_kernelIdLi2EZNS0_9templates4cuda21uniform_and_transformIddPNS_17CUDAGeneratorImplEZZZNS4_16geometric_kernelIS7_EEvRNS_18TensorIteratorBaseEdT_ENKUlvE_clEvENKUlvE4_clEvEUldE_EEvSA_T1_T2_EUlP25hiprandStatePhilox4_32_10E0_ZNS1_27distribution_nullary_kernelIdd15HIP_vector_typeIfLj4EES7_SJ_SE_EEvSA_SG_RKT3_T4_EUlidE_EEvlNS_15PhiloxCudaStateESF_SG_,comdat
	.globl	_ZN2at6native12_GLOBAL__N_143distribution_elementwise_grid_stride_kernelIdLi2EZNS0_9templates4cuda21uniform_and_transformIddPNS_17CUDAGeneratorImplEZZZNS4_16geometric_kernelIS7_EEvRNS_18TensorIteratorBaseEdT_ENKUlvE_clEvENKUlvE4_clEvEUldE_EEvSA_T1_T2_EUlP25hiprandStatePhilox4_32_10E0_ZNS1_27distribution_nullary_kernelIdd15HIP_vector_typeIfLj4EES7_SJ_SE_EEvSA_SG_RKT3_T4_EUlidE_EEvlNS_15PhiloxCudaStateESF_SG_ ; -- Begin function _ZN2at6native12_GLOBAL__N_143distribution_elementwise_grid_stride_kernelIdLi2EZNS0_9templates4cuda21uniform_and_transformIddPNS_17CUDAGeneratorImplEZZZNS4_16geometric_kernelIS7_EEvRNS_18TensorIteratorBaseEdT_ENKUlvE_clEvENKUlvE4_clEvEUldE_EEvSA_T1_T2_EUlP25hiprandStatePhilox4_32_10E0_ZNS1_27distribution_nullary_kernelIdd15HIP_vector_typeIfLj4EES7_SJ_SE_EEvSA_SG_RKT3_T4_EUlidE_EEvlNS_15PhiloxCudaStateESF_SG_
	.p2align	8
	.type	_ZN2at6native12_GLOBAL__N_143distribution_elementwise_grid_stride_kernelIdLi2EZNS0_9templates4cuda21uniform_and_transformIddPNS_17CUDAGeneratorImplEZZZNS4_16geometric_kernelIS7_EEvRNS_18TensorIteratorBaseEdT_ENKUlvE_clEvENKUlvE4_clEvEUldE_EEvSA_T1_T2_EUlP25hiprandStatePhilox4_32_10E0_ZNS1_27distribution_nullary_kernelIdd15HIP_vector_typeIfLj4EES7_SJ_SE_EEvSA_SG_RKT3_T4_EUlidE_EEvlNS_15PhiloxCudaStateESF_SG_,@function
_ZN2at6native12_GLOBAL__N_143distribution_elementwise_grid_stride_kernelIdLi2EZNS0_9templates4cuda21uniform_and_transformIddPNS_17CUDAGeneratorImplEZZZNS4_16geometric_kernelIS7_EEvRNS_18TensorIteratorBaseEdT_ENKUlvE_clEvENKUlvE4_clEvEUldE_EEvSA_T1_T2_EUlP25hiprandStatePhilox4_32_10E0_ZNS1_27distribution_nullary_kernelIdd15HIP_vector_typeIfLj4EES7_SJ_SE_EEvSA_SG_RKT3_T4_EUlidE_EEvlNS_15PhiloxCudaStateESF_SG_: ; @_ZN2at6native12_GLOBAL__N_143distribution_elementwise_grid_stride_kernelIdLi2EZNS0_9templates4cuda21uniform_and_transformIddPNS_17CUDAGeneratorImplEZZZNS4_16geometric_kernelIS7_EEvRNS_18TensorIteratorBaseEdT_ENKUlvE_clEvENKUlvE4_clEvEUldE_EEvSA_T1_T2_EUlP25hiprandStatePhilox4_32_10E0_ZNS1_27distribution_nullary_kernelIdd15HIP_vector_typeIfLj4EES7_SJ_SE_EEvSA_SG_RKT3_T4_EUlidE_EEvlNS_15PhiloxCudaStateESF_SG_
; %bb.0:
	s_clause 0x2
	s_load_b64 s[8:9], s[0:1], 0x10
	s_load_b128 s[4:7], s[0:1], 0x0
	s_load_b32 s2, s[0:1], 0x20
	s_waitcnt lgkmcnt(0)
	v_dual_mov_b32 v2, s8 :: v_dual_mov_b32 v3, s9
	v_dual_mov_b32 v8, s7 :: v_dual_mov_b32 v7, s6
	s_bitcmp0_b32 s2, 0
	s_mov_b32 s2, 0
	s_cbranch_scc1 .LBB22_2
; %bb.1:
	v_dual_mov_b32 v1, s8 :: v_dual_mov_b32 v2, s9
	v_dual_mov_b32 v4, s6 :: v_dual_mov_b32 v5, s7
	s_load_b64 s[6:7], s[0:1], 0x18
	flat_load_b64 v[2:3], v[1:2]
	flat_load_b64 v[7:8], v[4:5]
	s_waitcnt vmcnt(1) lgkmcnt(0)
	v_add_co_u32 v2, vcc_lo, v2, s6
	v_add_co_ci_u32_e32 v3, vcc_lo, s7, v3, vcc_lo
.LBB22_2:
	s_clause 0x1
	s_load_b32 s3, s[0:1], 0x54
	s_load_b32 s33, s[0:1], 0x48
	s_waitcnt lgkmcnt(0)
	s_and_b32 s31, s3, 0xffff
	s_add_u32 s6, s4, -1
	s_mul_i32 s14, s33, s31
	s_addc_u32 s3, s5, -1
	s_lshl_b32 s30, s14, 1
	s_cmp_lg_u64 s[2:3], 0
	s_cbranch_scc0 .LBB22_23
; %bb.3:
	v_cvt_f32_ubyte0_e32 v1, 0
	v_cvt_f32_u32_e32 v4, s30
	s_sub_u32 s8, 0, s30
	s_subb_u32 s9, 0, 0
	s_delay_alu instid0(VALU_DEP_1) | instskip(NEXT) | instid1(VALU_DEP_1)
	v_fmamk_f32 v1, v1, 0x4f800000, v4
	v_rcp_f32_e32 v1, v1
	s_waitcnt_depctr 0xfff
	v_mul_f32_e32 v1, 0x5f7ffffc, v1
	s_delay_alu instid0(VALU_DEP_1) | instskip(NEXT) | instid1(VALU_DEP_1)
	v_mul_f32_e32 v4, 0x2f800000, v1
	v_trunc_f32_e32 v4, v4
	s_delay_alu instid0(VALU_DEP_1) | instskip(SKIP_1) | instid1(VALU_DEP_2)
	v_fmamk_f32 v1, v4, 0xcf800000, v1
	v_cvt_u32_f32_e32 v4, v4
	v_cvt_u32_f32_e32 v1, v1
	s_delay_alu instid0(VALU_DEP_2) | instskip(NEXT) | instid1(VALU_DEP_2)
	v_readfirstlane_b32 s2, v4
	v_readfirstlane_b32 s7, v1
	s_delay_alu instid0(VALU_DEP_2) | instskip(NEXT) | instid1(VALU_DEP_1)
	s_mul_i32 s10, s8, s2
	s_mul_hi_u32 s12, s8, s7
	s_mul_i32 s11, s9, s7
	s_add_i32 s10, s12, s10
	s_mul_i32 s13, s8, s7
	s_add_i32 s10, s10, s11
	s_mul_hi_u32 s12, s7, s13
	s_mul_hi_u32 s16, s2, s13
	s_mul_i32 s11, s2, s13
	s_mul_hi_u32 s13, s7, s10
	s_mul_i32 s7, s7, s10
	s_mul_hi_u32 s17, s2, s10
	s_add_u32 s7, s12, s7
	s_addc_u32 s12, 0, s13
	s_add_u32 s7, s7, s11
	s_mul_i32 s10, s2, s10
	s_addc_u32 s7, s12, s16
	s_addc_u32 s11, s17, 0
	s_add_u32 s7, s7, s10
	s_addc_u32 s10, 0, s11
	v_add_co_u32 v1, s7, v1, s7
	s_delay_alu instid0(VALU_DEP_1) | instskip(SKIP_1) | instid1(VALU_DEP_1)
	s_cmp_lg_u32 s7, 0
	s_addc_u32 s2, s2, s10
	v_readfirstlane_b32 s7, v1
	s_mul_i32 s10, s8, s2
	s_delay_alu instid0(VALU_DEP_1)
	s_mul_hi_u32 s11, s8, s7
	s_mul_i32 s9, s9, s7
	s_add_i32 s10, s11, s10
	s_mul_i32 s8, s8, s7
	s_add_i32 s10, s10, s9
	s_mul_hi_u32 s11, s2, s8
	s_mul_i32 s12, s2, s8
	s_mul_hi_u32 s8, s7, s8
	s_mul_hi_u32 s13, s7, s10
	s_mul_i32 s7, s7, s10
	s_mul_hi_u32 s9, s2, s10
	s_add_u32 s7, s8, s7
	s_addc_u32 s8, 0, s13
	s_add_u32 s7, s7, s12
	s_mul_i32 s10, s2, s10
	s_addc_u32 s7, s8, s11
	s_addc_u32 s8, s9, 0
	s_add_u32 s7, s7, s10
	s_addc_u32 s8, 0, s8
	v_add_co_u32 v1, s7, v1, s7
	s_delay_alu instid0(VALU_DEP_1) | instskip(SKIP_2) | instid1(VALU_DEP_1)
	s_cmp_lg_u32 s7, 0
	s_addc_u32 s7, s2, s8
	s_ashr_i32 s8, s3, 31
	v_readfirstlane_b32 s10, v1
	s_add_u32 s2, s6, s8
	s_mov_b32 s9, s8
	s_addc_u32 s3, s3, s8
	s_delay_alu instid0(SALU_CYCLE_1) | instskip(NEXT) | instid1(SALU_CYCLE_1)
	s_xor_b64 s[2:3], s[2:3], s[8:9]
	s_mul_i32 s12, s2, s7
	s_mul_hi_u32 s13, s2, s10
	s_mul_hi_u32 s11, s2, s7
	;; [unrolled: 1-line block ×3, first 2 shown]
	s_mul_i32 s10, s3, s10
	s_add_u32 s12, s13, s12
	s_addc_u32 s11, 0, s11
	s_mul_hi_u32 s16, s3, s7
	s_add_u32 s10, s12, s10
	s_mul_i32 s7, s3, s7
	s_addc_u32 s10, s11, s17
	s_addc_u32 s11, s16, 0
	s_add_u32 s7, s10, s7
	s_addc_u32 s10, 0, s11
	s_mul_i32 s12, s30, s7
	s_add_u32 s11, s7, 1
	v_sub_co_u32 v1, s2, s2, s12
	s_mul_hi_u32 s12, s30, s7
	s_addc_u32 s13, s10, 0
	s_mul_i32 s16, s30, s10
	s_delay_alu instid0(VALU_DEP_1)
	v_sub_co_u32 v4, s17, v1, s30
	s_add_u32 s18, s7, 2
	s_addc_u32 s19, s10, 0
	s_add_i32 s12, s12, s16
	s_cmp_lg_u32 s2, 0
	v_readfirstlane_b32 s2, v4
	s_subb_u32 s3, s3, s12
	s_cmp_lg_u32 s17, 0
	s_subb_u32 s12, s3, 0
	s_delay_alu instid0(VALU_DEP_1) | instskip(SKIP_4) | instid1(SALU_CYCLE_1)
	s_cmp_ge_u32 s2, s30
	s_cselect_b32 s2, -1, 0
	s_cmp_eq_u32 s12, 0
	v_readfirstlane_b32 s12, v1
	s_cselect_b32 s2, s2, -1
	s_cmp_lg_u32 s2, 0
	s_cselect_b32 s2, s18, s11
	s_cselect_b32 s11, s19, s13
	s_cmp_ge_u32 s12, s30
	s_cselect_b32 s12, -1, 0
	s_cmp_eq_u32 s3, 0
	s_cselect_b32 s3, s12, -1
	s_delay_alu instid0(SALU_CYCLE_1) | instskip(SKIP_2) | instid1(SALU_CYCLE_1)
	s_cmp_lg_u32 s3, 0
	s_cselect_b32 s3, s11, s10
	s_cselect_b32 s2, s2, s7
	s_xor_b64 s[2:3], s[2:3], s[8:9]
	s_delay_alu instid0(SALU_CYCLE_1)
	s_sub_u32 s2, s2, s8
	s_subb_u32 s3, s3, s8
	s_cbranch_execnz .LBB22_5
.LBB22_4:
	v_cvt_f32_u32_e32 v1, s30
	s_sub_i32 s3, 0, s30
	s_delay_alu instid0(VALU_DEP_1) | instskip(SKIP_2) | instid1(VALU_DEP_1)
	v_rcp_iflag_f32_e32 v1, v1
	s_waitcnt_depctr 0xfff
	v_mul_f32_e32 v1, 0x4f7ffffe, v1
	v_cvt_u32_f32_e32 v1, v1
	s_delay_alu instid0(VALU_DEP_1) | instskip(NEXT) | instid1(VALU_DEP_1)
	v_readfirstlane_b32 s2, v1
	s_mul_i32 s3, s3, s2
	s_delay_alu instid0(SALU_CYCLE_1) | instskip(NEXT) | instid1(SALU_CYCLE_1)
	s_mul_hi_u32 s3, s2, s3
	s_add_i32 s2, s2, s3
	s_delay_alu instid0(SALU_CYCLE_1) | instskip(NEXT) | instid1(SALU_CYCLE_1)
	s_mul_hi_u32 s2, s6, s2
	s_mul_i32 s3, s2, s30
	s_delay_alu instid0(SALU_CYCLE_1)
	s_sub_i32 s3, s6, s3
	s_add_i32 s6, s2, 1
	s_sub_i32 s7, s3, s30
	s_cmp_ge_u32 s3, s30
	s_cselect_b32 s2, s6, s2
	s_cselect_b32 s3, s7, s3
	s_add_i32 s6, s2, 1
	s_cmp_ge_u32 s3, s30
	s_mov_b32 s3, 0
	s_cselect_b32 s2, s6, s2
.LBB22_5:
	v_mov_b32_e32 v9, 0
	s_add_u32 s2, s2, 1
	s_addc_u32 s3, s3, 0
	s_mul_hi_u32 s6, s33, s31
	s_mul_hi_u32 s7, s14, s2
	v_mov_b32_e32 v1, v9
	s_mul_i32 s3, s14, s3
	s_mul_i32 s6, s6, s2
	s_add_i32 s3, s7, s3
	s_mul_i32 s2, s14, s2
	v_mad_u64_u32 v[11:12], null, s31, s15, v[0:1]
	s_add_i32 s3, s3, s6
	s_mov_b32 s6, exec_lo
	s_lshl_b64 s[2:3], s[2:3], 1
	s_delay_alu instid0(VALU_DEP_1) | instid1(SALU_CYCLE_1)
	v_cmpx_gt_i64_e64 s[2:3], v[11:12]
	s_cbranch_execz .LBB22_22
; %bb.6:
	s_clause 0x1
	s_load_b64 s[28:29], s[0:1], 0x40
	s_load_b32 s34, s[0:1], 0x38
	s_mov_b32 s6, 0x55555555
	s_mov_b32 s7, 0x3fe55555
	;; [unrolled: 1-line block ×18, first 2 shown]
	s_waitcnt lgkmcnt(0)
	v_add_f64 v[4:5], -s[28:29], 1.0
	s_mov_b32 s26, 0x3b39803f
	s_mov_b32 s27, 0x3c7abc9e
	s_waitcnt vmcnt(0)
	v_mov_b32_e32 v10, v8
	v_add_co_u32 v36, null, 0xf1bbcdc8, v7
	s_load_b64 s[0:1], s[0:1], 0x30
	v_mov_b32_e32 v38, v11
	s_delay_alu instid0(VALU_DEP_4) | instskip(SKIP_2) | instid1(VALU_DEP_3)
	v_frexp_mant_f64_e32 v[13:14], v[4:5]
	v_frexp_exp_i32_f64_e32 v1, v[4:5]
	v_add_f64 v[15:16], v[4:5], -1.0
	v_cmp_gt_f64_e32 vcc_lo, s[6:7], v[13:14]
	s_delay_alu instid0(VALU_DEP_2) | instskip(SKIP_2) | instid1(VALU_DEP_3)
	v_add_f64 v[13:14], v[15:16], -v[4:5]
	v_add_f64 v[15:16], -s[28:29], -v[15:16]
	v_subrev_co_ci_u32_e32 v1, vcc_lo, 0, v1, vcc_lo
	v_add_f64 v[13:14], v[13:14], 1.0
	v_cmp_ngt_f64_e64 vcc_lo, s[28:29], 1.0
	s_delay_alu instid0(VALU_DEP_3) | instskip(NEXT) | instid1(VALU_DEP_1)
	v_sub_nc_u32_e32 v6, 0, v1
	v_ldexp_f64 v[4:5], v[4:5], v6
	s_delay_alu instid0(VALU_DEP_4) | instskip(NEXT) | instid1(VALU_DEP_2)
	v_add_f64 v[13:14], v[15:16], v[13:14]
	v_add_f64 v[17:18], v[4:5], 1.0
	v_add_f64 v[23:24], v[4:5], -1.0
	s_delay_alu instid0(VALU_DEP_3) | instskip(NEXT) | instid1(VALU_DEP_3)
	v_ldexp_f64 v[13:14], v[13:14], v6
	v_add_f64 v[15:16], v[17:18], -1.0
	s_delay_alu instid0(VALU_DEP_3) | instskip(NEXT) | instid1(VALU_DEP_2)
	v_add_f64 v[25:26], v[23:24], 1.0
	v_add_f64 v[15:16], v[4:5], -v[15:16]
	s_delay_alu instid0(VALU_DEP_2) | instskip(NEXT) | instid1(VALU_DEP_2)
	v_add_f64 v[4:5], v[4:5], -v[25:26]
	v_add_f64 v[15:16], v[13:14], v[15:16]
	s_delay_alu instid0(VALU_DEP_2) | instskip(NEXT) | instid1(VALU_DEP_2)
	v_add_f64 v[4:5], v[13:14], v[4:5]
	v_add_f64 v[19:20], v[17:18], v[15:16]
	s_delay_alu instid0(VALU_DEP_2) | instskip(NEXT) | instid1(VALU_DEP_2)
	v_add_f64 v[25:26], v[23:24], v[4:5]
	v_rcp_f64_e32 v[21:22], v[19:20]
	v_add_f64 v[17:18], v[19:20], -v[17:18]
	s_delay_alu instid0(VALU_DEP_2) | instskip(NEXT) | instid1(VALU_DEP_2)
	v_add_f64 v[23:24], v[25:26], -v[23:24]
	v_add_f64 v[15:16], v[15:16], -v[17:18]
	s_waitcnt_depctr 0xfff
	v_fma_f64 v[27:28], -v[19:20], v[21:22], 1.0
	v_add_f64 v[4:5], v[4:5], -v[23:24]
	s_delay_alu instid0(VALU_DEP_2) | instskip(NEXT) | instid1(VALU_DEP_1)
	v_fma_f64 v[21:22], v[27:28], v[21:22], v[21:22]
	v_fma_f64 v[13:14], -v[19:20], v[21:22], 1.0
	s_delay_alu instid0(VALU_DEP_1) | instskip(NEXT) | instid1(VALU_DEP_1)
	v_fma_f64 v[13:14], v[13:14], v[21:22], v[21:22]
	v_mul_f64 v[21:22], v[25:26], v[13:14]
	s_delay_alu instid0(VALU_DEP_1) | instskip(NEXT) | instid1(VALU_DEP_1)
	v_mul_f64 v[27:28], v[19:20], v[21:22]
	v_fma_f64 v[17:18], v[21:22], v[19:20], -v[27:28]
	s_delay_alu instid0(VALU_DEP_1) | instskip(NEXT) | instid1(VALU_DEP_1)
	v_fma_f64 v[17:18], v[21:22], v[15:16], v[17:18]
	v_add_f64 v[29:30], v[27:28], v[17:18]
	s_delay_alu instid0(VALU_DEP_1) | instskip(SKIP_1) | instid1(VALU_DEP_2)
	v_add_f64 v[31:32], v[25:26], -v[29:30]
	v_add_f64 v[23:24], v[29:30], -v[27:28]
	;; [unrolled: 1-line block ×3, first 2 shown]
	s_delay_alu instid0(VALU_DEP_2) | instskip(NEXT) | instid1(VALU_DEP_2)
	v_add_f64 v[17:18], v[23:24], -v[17:18]
	v_add_f64 v[25:26], v[25:26], -v[29:30]
	s_delay_alu instid0(VALU_DEP_1) | instskip(NEXT) | instid1(VALU_DEP_1)
	v_add_f64 v[4:5], v[4:5], v[25:26]
	v_add_f64 v[4:5], v[17:18], v[4:5]
	s_delay_alu instid0(VALU_DEP_1) | instskip(NEXT) | instid1(VALU_DEP_1)
	v_add_f64 v[17:18], v[31:32], v[4:5]
	v_mul_f64 v[23:24], v[13:14], v[17:18]
	v_add_f64 v[29:30], v[31:32], -v[17:18]
	v_and_b32_e32 v31, 3, v2
	v_add_co_u32 v37, null, 0xdb3d7428, v10
	s_delay_alu instid0(VALU_DEP_4) | instskip(NEXT) | instid1(VALU_DEP_4)
	v_mul_f64 v[25:26], v[19:20], v[23:24]
	v_add_f64 v[4:5], v[4:5], v[29:30]
	s_delay_alu instid0(VALU_DEP_2) | instskip(NEXT) | instid1(VALU_DEP_1)
	v_fma_f64 v[19:20], v[23:24], v[19:20], -v[25:26]
	v_fma_f64 v[15:16], v[23:24], v[15:16], v[19:20]
	s_delay_alu instid0(VALU_DEP_1) | instskip(NEXT) | instid1(VALU_DEP_1)
	v_add_f64 v[19:20], v[25:26], v[15:16]
	v_add_f64 v[27:28], v[17:18], -v[19:20]
	v_add_f64 v[25:26], v[19:20], -v[25:26]
	s_delay_alu instid0(VALU_DEP_2) | instskip(NEXT) | instid1(VALU_DEP_2)
	v_add_f64 v[17:18], v[17:18], -v[27:28]
	v_add_f64 v[15:16], v[25:26], -v[15:16]
	s_delay_alu instid0(VALU_DEP_2) | instskip(NEXT) | instid1(VALU_DEP_1)
	v_add_f64 v[17:18], v[17:18], -v[19:20]
	v_add_f64 v[4:5], v[4:5], v[17:18]
	v_add_f64 v[17:18], v[21:22], v[23:24]
	s_delay_alu instid0(VALU_DEP_2) | instskip(NEXT) | instid1(VALU_DEP_2)
	v_add_f64 v[4:5], v[15:16], v[4:5]
	v_add_f64 v[15:16], v[17:18], -v[21:22]
	s_delay_alu instid0(VALU_DEP_2) | instskip(NEXT) | instid1(VALU_DEP_2)
	v_add_f64 v[4:5], v[27:28], v[4:5]
	v_add_f64 v[15:16], v[23:24], -v[15:16]
	s_delay_alu instid0(VALU_DEP_2) | instskip(NEXT) | instid1(VALU_DEP_1)
	v_mul_f64 v[4:5], v[13:14], v[4:5]
	v_add_f64 v[4:5], v[15:16], v[4:5]
	s_delay_alu instid0(VALU_DEP_1) | instskip(NEXT) | instid1(VALU_DEP_1)
	v_add_f64 v[13:14], v[17:18], v[4:5]
	v_mul_f64 v[15:16], v[13:14], v[13:14]
	s_delay_alu instid0(VALU_DEP_1) | instskip(SKIP_1) | instid1(VALU_DEP_2)
	v_fma_f64 v[19:20], v[15:16], s[10:11], s[8:9]
	v_mul_f64 v[21:22], v[13:14], v[15:16]
	v_fma_f64 v[19:20], v[15:16], v[19:20], s[12:13]
	s_delay_alu instid0(VALU_DEP_1) | instskip(NEXT) | instid1(VALU_DEP_1)
	v_fma_f64 v[19:20], v[15:16], v[19:20], s[16:17]
	v_fma_f64 v[19:20], v[15:16], v[19:20], s[18:19]
	s_delay_alu instid0(VALU_DEP_1) | instskip(NEXT) | instid1(VALU_DEP_1)
	v_fma_f64 v[19:20], v[15:16], v[19:20], s[20:21]
	v_fma_f64 v[15:16], v[15:16], v[19:20], s[22:23]
	v_ldexp_f64 v[19:20], v[13:14], 1
	v_add_f64 v[13:14], v[13:14], -v[17:18]
	v_cmp_eq_f64_e64 s23, 0xfff00000, s[28:29]
	s_delay_alu instid0(VALU_DEP_4) | instskip(SKIP_1) | instid1(VALU_DEP_4)
	v_mul_f64 v[15:16], v[21:22], v[15:16]
	v_cvt_f64_i32_e32 v[21:22], v1
	v_add_f64 v[4:5], v[4:5], -v[13:14]
	s_delay_alu instid0(VALU_DEP_3) | instskip(NEXT) | instid1(VALU_DEP_3)
	v_add_f64 v[17:18], v[19:20], v[15:16]
	v_mul_f64 v[23:24], v[21:22], s[24:25]
	s_delay_alu instid0(VALU_DEP_3) | instskip(NEXT) | instid1(VALU_DEP_3)
	v_ldexp_f64 v[4:5], v[4:5], 1
	v_add_f64 v[13:14], v[17:18], -v[19:20]
	s_delay_alu instid0(VALU_DEP_3) | instskip(NEXT) | instid1(VALU_DEP_2)
	v_fma_f64 v[19:20], v[21:22], s[24:25], -v[23:24]
	v_add_f64 v[13:14], v[15:16], -v[13:14]
	s_delay_alu instid0(VALU_DEP_2) | instskip(NEXT) | instid1(VALU_DEP_2)
	v_fma_f64 v[15:16], v[21:22], s[26:27], v[19:20]
	v_add_f64 v[4:5], v[4:5], v[13:14]
	s_delay_alu instid0(VALU_DEP_2) | instskip(NEXT) | instid1(VALU_DEP_2)
	v_add_f64 v[13:14], v[23:24], v[15:16]
	v_add_f64 v[19:20], v[17:18], v[4:5]
	s_delay_alu instid0(VALU_DEP_2) | instskip(NEXT) | instid1(VALU_DEP_2)
	v_add_f64 v[23:24], v[13:14], -v[23:24]
	v_add_f64 v[21:22], v[13:14], v[19:20]
	v_add_f64 v[17:18], v[19:20], -v[17:18]
	s_delay_alu instid0(VALU_DEP_3) | instskip(NEXT) | instid1(VALU_DEP_3)
	v_add_f64 v[15:16], v[15:16], -v[23:24]
	v_add_f64 v[25:26], v[21:22], -v[13:14]
	s_delay_alu instid0(VALU_DEP_3) | instskip(NEXT) | instid1(VALU_DEP_2)
	v_add_f64 v[4:5], v[4:5], -v[17:18]
	v_add_f64 v[27:28], v[21:22], -v[25:26]
	;; [unrolled: 1-line block ×3, first 2 shown]
	s_delay_alu instid0(VALU_DEP_3) | instskip(SKIP_1) | instid1(VALU_DEP_4)
	v_add_f64 v[19:20], v[15:16], v[4:5]
	v_mad_u64_u32 v[25:26], null, 0xcd9e8d57, v11, 0
	v_add_f64 v[13:14], v[13:14], -v[27:28]
	s_delay_alu instid0(VALU_DEP_1) | instskip(NEXT) | instid1(VALU_DEP_4)
	v_add_f64 v[13:14], v[17:18], v[13:14]
	v_add_f64 v[17:18], v[19:20], -v[15:16]
	s_delay_alu instid0(VALU_DEP_2) | instskip(NEXT) | instid1(VALU_DEP_2)
	v_add_f64 v[13:14], v[19:20], v[13:14]
	v_add_f64 v[19:20], v[19:20], -v[17:18]
	v_add_f64 v[4:5], v[4:5], -v[17:18]
	v_lshrrev_b32_e32 v18, 2, v3
	v_alignbit_b32 v17, v3, v2, 2
	s_delay_alu instid0(VALU_DEP_2) | instskip(NEXT) | instid1(VALU_DEP_2)
	v_xor3_b32 v3, v7, v26, v18
	v_mad_u64_u32 v[23:24], null, 0xd2511f53, v17, 0
	s_delay_alu instid0(VALU_DEP_2) | instskip(NEXT) | instid1(VALU_DEP_2)
	v_mad_u64_u32 v[26:27], null, 0xd2511f53, v3, 0
	v_xor_b32_e32 v1, v24, v8
	v_add_co_u32 v24, null, 0xdaa66d2b, v7
	s_delay_alu instid0(VALU_DEP_2) | instskip(NEXT) | instid1(VALU_DEP_1)
	v_xor_b32_e32 v1, v1, v12
	v_mad_u64_u32 v[28:29], null, 0xcd9e8d57, v1, 0
	v_add_f64 v[32:33], v[21:22], v[13:14]
	v_add_f64 v[15:16], v[15:16], -v[19:20]
	v_add_co_u32 v19, null, 0xbb67ae85, v10
	v_add_co_u32 v20, null, 0x9e3779b9, v7
	s_delay_alu instid0(VALU_DEP_2) | instskip(SKIP_3) | instid1(VALU_DEP_2)
	v_xor3_b32 v1, v19, v27, v23
	v_add_co_u32 v23, null, 0x32370b8f, v10
	v_add_f64 v[21:22], v[32:33], -v[21:22]
	v_add_f64 v[3:4], v[4:5], v[15:16]
	v_add_f64 v[5:6], v[13:14], -v[21:22]
	v_xor3_b32 v21, v20, v29, v25
	v_mad_u64_u32 v[13:14], null, 0xcd9e8d57, v1, 0
	v_add_co_u32 v22, null, 0x76cf5d0a, v10
	s_delay_alu instid0(VALU_DEP_3) | instskip(SKIP_1) | instid1(VALU_DEP_1)
	v_mad_u64_u32 v[15:16], null, 0xd2511f53, v21, 0
	v_add_co_u32 v21, null, 0x3c6ef372, v7
	v_xor3_b32 v1, v21, v14, v28
	s_delay_alu instid0(VALU_DEP_3) | instskip(SKIP_1) | instid1(VALU_DEP_3)
	v_xor3_b32 v14, v22, v16, v26
	v_add_co_u32 v26, null, 0xed9eba14, v10
	v_mad_u64_u32 v[27:28], null, 0xd2511f53, v1, 0
	s_delay_alu instid0(VALU_DEP_3) | instskip(NEXT) | instid1(VALU_DEP_2)
	v_mad_u64_u32 v[29:30], null, 0xcd9e8d57, v14, 0
	v_xor3_b32 v1, v23, v28, v15
	v_add_co_u32 v28, null, 0x1715609d, v7
	s_delay_alu instid0(VALU_DEP_3) | instskip(SKIP_1) | instid1(VALU_DEP_4)
	v_xor3_b32 v25, v24, v30, v13
	v_add_co_u32 v30, null, 0x646e171e, v10
	v_mad_u64_u32 v[13:14], null, 0xcd9e8d57, v1, 0
	s_delay_alu instid0(VALU_DEP_3) | instskip(SKIP_2) | instid1(VALU_DEP_2)
	v_mad_u64_u32 v[15:16], null, 0xd2511f53, v25, 0
	v_add_co_u32 v25, null, 0x78dde6e4, v7
	v_add_f64 v[3:4], v[3:4], v[5:6]
	v_xor3_b32 v1, v25, v14, v29
	s_delay_alu instid0(VALU_DEP_4) | instskip(SKIP_2) | instid1(VALU_DEP_4)
	v_xor3_b32 v14, v26, v16, v27
	v_add_co_u32 v27, null, 0xa9066899, v10
	v_add_co_u32 v29, null, 0xb54cda56, v7
	v_mad_u64_u32 v[5:6], null, 0xd2511f53, v1, 0
	s_delay_alu instid0(VALU_DEP_4) | instskip(NEXT) | instid1(VALU_DEP_2)
	v_mad_u64_u32 v[34:35], null, 0xcd9e8d57, v14, 0
	v_xor3_b32 v1, v27, v6, v15
	s_delay_alu instid0(VALU_DEP_2) | instskip(NEXT) | instid1(VALU_DEP_2)
	v_xor3_b32 v6, v28, v35, v13
	v_mad_u64_u32 v[13:14], null, 0xcd9e8d57, v1, 0
	s_delay_alu instid0(VALU_DEP_2) | instskip(NEXT) | instid1(VALU_DEP_2)
	v_mad_u64_u32 v[15:16], null, 0xd2511f53, v6, 0
	v_xor3_b32 v6, v29, v14, v34
	v_add_co_u32 v34, null, 0x5384540f, v7
	s_delay_alu instid0(VALU_DEP_3) | instskip(SKIP_1) | instid1(VALU_DEP_4)
	v_xor3_b32 v14, v30, v16, v5
	v_add_f64 v[1:2], v[32:33], v[3:4]
	v_mad_u64_u32 v[3:4], null, 0xd2511f53, v6, 0
	s_delay_alu instid0(VALU_DEP_3) | instskip(SKIP_2) | instid1(VALU_DEP_2)
	v_mad_u64_u32 v[5:6], null, 0xcd9e8d57, v14, 0
	v_add_co_u32 v32, null, 0x1fd5c5a3, v10
	v_add_nc_u32_e32 v33, 0x8ff34781, v7
	v_xor3_b32 v4, v32, v4, v15
	s_delay_alu instid0(VALU_DEP_4) | instskip(NEXT) | instid1(VALU_DEP_2)
	v_xor3_b32 v6, v34, v6, v13
	v_mad_u64_u32 v[13:14], null, 0xcd9e8d57, v4, 0
	s_delay_alu instid0(VALU_DEP_2) | instskip(NEXT) | instid1(VALU_DEP_2)
	v_mad_u64_u32 v[41:42], null, 0xd2511f53, v6, 0
	v_xor3_b32 v4, v36, v14, v5
	v_mad_u64_u32 v[15:16], null, s15, s31, v[0:1]
	s_add_i32 s15, s15, s33
	s_mul_i32 s33, s33, s34
	v_mad_u64_u32 v[43:44], null, s15, s31, v[0:1]
	s_delay_alu instid0(VALU_DEP_4) | instskip(SKIP_3) | instid1(VALU_DEP_3)
	v_xor3_b32 v0, v37, v42, v3
	s_xor_b32 s15, s29, 0x80000000
	v_mad_u64_u32 v[44:45], null, 0xd2511f53, v4, 0
	v_add_nc_u32_e32 v35, 0x96a522ad, v8
	v_mad_u64_u32 v[4:5], null, 0xcd9e8d57, v0, 0
	v_cndmask_b32_e64 v0, v1, s28, s23
	v_cndmask_b32_e64 v1, v2, s15, s23
	v_mul_lo_u32 v39, s34, v15
	v_mov_b32_e32 v6, v44
	v_mul_lo_u32 v40, s34, v43
	s_mul_i32 s33, s33, s31
	v_cndmask_b32_e32 v1, 0x7ff80000, v1, vcc_lo
	v_cmp_nge_f64_e64 vcc_lo, s[28:29], 1.0
	v_xor3_b32 v3, v5, v13, v33
	v_xor3_b32 v5, v45, v41, v35
	s_mov_b32 s15, 0
	v_mov_b32_e32 v41, v12
	v_cndmask_b32_e32 v13, 0, v0, vcc_lo
	v_cmp_neq_f64_e64 vcc_lo, s[28:29], 1.0
	s_lshl_b32 s28, s33, 1
	s_mov_b32 s29, 0
	v_cndmask_b32_e32 v14, 0xfff00000, v1, vcc_lo
	s_branch .LBB22_8
.LBB22_7:                               ;   in Loop: Header=BB22_8 Depth=1
	s_or_b32 exec_lo, exec_lo, s31
	v_add_co_u32 v11, vcc_lo, v11, s30
	v_add_co_ci_u32_e32 v12, vcc_lo, 0, v12, vcc_lo
	v_mov_b32_e32 v3, v15
	s_add_i32 s29, s29, s28
	s_waitcnt lgkmcnt(0)
	s_waitcnt_vscnt null, 0x0
	v_cmp_le_i64_e32 vcc_lo, s[2:3], v[11:12]
	s_barrier
	v_mov_b32_e32 v6, v3
	v_dual_mov_b32 v5, v2 :: v_dual_mov_b32 v4, v1
	v_mov_b32_e32 v3, v0
	s_or_b32 s15, vcc_lo, s15
	buffer_gl0_inv
	s_and_not1_b32 exec_lo, exec_lo, s15
	s_cbranch_execz .LBB22_22
.LBB22_8:                               ; =>This Inner Loop Header: Depth=1
	v_add_co_u32 v17, vcc_lo, v17, 1
	s_delay_alu instid0(VALU_DEP_1) | instskip(SKIP_2) | instid1(VALU_DEP_1)
	v_cndmask_b32_e64 v0, 0, 1, vcc_lo
	v_add_co_ci_u32_e32 v18, vcc_lo, 0, v18, vcc_lo
	s_mov_b32 s23, exec_lo
	v_cmp_eq_u32_e32 vcc_lo, 0, v18
	s_delay_alu instid0(VALU_DEP_3) | instskip(NEXT) | instid1(VALU_DEP_1)
	v_cndmask_b32_e32 v0, 0, v0, vcc_lo
	v_add_nc_u32_e32 v38, v0, v38
	s_delay_alu instid0(VALU_DEP_1) | instskip(SKIP_2) | instid1(VALU_DEP_2)
	v_cmp_eq_u32_e32 vcc_lo, 0, v38
	v_mad_u64_u32 v[15:16], null, 0xcd9e8d57, v38, 0
	v_cndmask_b32_e32 v0, 0, v0, vcc_lo
	v_xor3_b32 v16, v16, v7, v18
	s_delay_alu instid0(VALU_DEP_2) | instskip(SKIP_1) | instid1(VALU_DEP_3)
	v_add_nc_u32_e32 v41, v0, v41
	v_mad_u64_u32 v[0:1], null, 0xd2511f53, v17, 0
	v_mad_u64_u32 v[42:43], null, 0xd2511f53, v16, 0
	s_delay_alu instid0(VALU_DEP_2) | instskip(NEXT) | instid1(VALU_DEP_2)
	v_xor_b32_e32 v1, v1, v8
	v_xor3_b32 v0, v19, v43, v0
	s_delay_alu instid0(VALU_DEP_2) | instskip(NEXT) | instid1(VALU_DEP_2)
	v_xor_b32_e32 v10, v41, v1
	v_mad_u64_u32 v[43:44], null, 0xcd9e8d57, v0, 0
	s_delay_alu instid0(VALU_DEP_2) | instskip(NEXT) | instid1(VALU_DEP_1)
	v_mad_u64_u32 v[1:2], null, 0xcd9e8d57, v10, 0
	v_xor3_b32 v2, v20, v2, v15
	s_delay_alu instid0(VALU_DEP_2) | instskip(NEXT) | instid1(VALU_DEP_2)
	v_xor3_b32 v10, v21, v44, v1
	v_mad_u64_u32 v[15:16], null, 0xd2511f53, v2, 0
	s_delay_alu instid0(VALU_DEP_2) | instskip(NEXT) | instid1(VALU_DEP_2)
	v_mad_u64_u32 v[44:45], null, 0xd2511f53, v10, 0
	v_xor3_b32 v2, v22, v16, v42
	s_delay_alu instid0(VALU_DEP_2) | instskip(NEXT) | instid1(VALU_DEP_2)
	v_xor3_b32 v42, v23, v45, v15
	v_mad_u64_u32 v[0:1], null, 0xcd9e8d57, v2, 0
	s_delay_alu instid0(VALU_DEP_2) | instskip(NEXT) | instid1(VALU_DEP_2)
	v_mad_u64_u32 v[15:16], null, 0xcd9e8d57, v42, 0
	v_xor3_b32 v10, v24, v1, v43
	s_delay_alu instid0(VALU_DEP_2) | instskip(NEXT) | instid1(VALU_DEP_2)
	v_xor3_b32 v0, v25, v16, v0
	v_mad_u64_u32 v[1:2], null, 0xd2511f53, v10, 0
	s_delay_alu instid0(VALU_DEP_1) | instskip(NEXT) | instid1(VALU_DEP_3)
	v_xor3_b32 v2, v26, v2, v44
	v_mad_u64_u32 v[44:45], null, 0xd2511f53, v0, 0
	s_delay_alu instid0(VALU_DEP_2) | instskip(NEXT) | instid1(VALU_DEP_2)
	v_mad_u64_u32 v[42:43], null, 0xcd9e8d57, v2, 0
	v_xor3_b32 v10, v27, v45, v1
	s_delay_alu instid0(VALU_DEP_2) | instskip(NEXT) | instid1(VALU_DEP_2)
	v_xor3_b32 v2, v28, v43, v15
	v_mad_u64_u32 v[15:16], null, 0xcd9e8d57, v10, 0
	s_delay_alu instid0(VALU_DEP_2) | instskip(NEXT) | instid1(VALU_DEP_2)
	v_mad_u64_u32 v[0:1], null, 0xd2511f53, v2, 0
	v_xor3_b32 v16, v29, v16, v42
	s_delay_alu instid0(VALU_DEP_2) | instskip(NEXT) | instid1(VALU_DEP_2)
	;; [unrolled: 6-line block ×4, first 2 shown]
	v_xor3_b32 v0, v37, v44, v42
	v_mad_u64_u32 v[15:16], null, 0xd2511f53, v10, 0
	s_delay_alu instid0(VALU_DEP_2) | instskip(NEXT) | instid1(VALU_DEP_1)
	v_mad_u64_u32 v[1:2], null, 0xcd9e8d57, v0, 0
	v_xor3_b32 v0, v2, v45, v33
	s_delay_alu instid0(VALU_DEP_3)
	v_xor3_b32 v2, v16, v43, v35
	v_cmpx_lt_i32_e32 1, v31
	s_xor_b32 s23, exec_lo, s23
	s_cbranch_execnz .LBB22_14
; %bb.9:                                ;   in Loop: Header=BB22_8 Depth=1
	s_and_not1_saveexec_b32 s23, s23
	s_cbranch_execnz .LBB22_19
.LBB22_10:                              ;   in Loop: Header=BB22_8 Depth=1
	s_or_b32 exec_lo, exec_lo, s23
	s_delay_alu instid0(SALU_CYCLE_1)
	s_mov_b32 s31, exec_lo
	v_cmpx_gt_i64_e64 s[4:5], v[11:12]
	s_cbranch_execz .LBB22_12
.LBB22_11:                              ;   in Loop: Header=BB22_8 Depth=1
	v_cvt_f32_u32_e32 v3, v3
	s_mov_b32 s23, s7
	s_delay_alu instid0(VALU_DEP_1) | instskip(NEXT) | instid1(VALU_DEP_1)
	v_fmaak_f32 v3, 0x2f800000, v3, 0x2f800000
	v_cvt_f64_f32_e32 v[5:6], v3
	s_delay_alu instid0(VALU_DEP_1) | instskip(NEXT) | instid1(VALU_DEP_1)
	v_frexp_mant_f64_e32 v[42:43], v[5:6]
	v_cmp_gt_f64_e32 vcc_lo, s[6:7], v[42:43]
	v_cndmask_b32_e64 v10, 0x3ff00000, 2.0, vcc_lo
	s_delay_alu instid0(VALU_DEP_1) | instskip(SKIP_1) | instid1(VALU_DEP_2)
	v_mul_f64 v[42:43], v[42:43], v[9:10]
	v_frexp_exp_i32_f64_e32 v10, v[5:6]
	v_add_f64 v[44:45], v[42:43], 1.0
	v_add_f64 v[50:51], v[42:43], -1.0
	s_delay_alu instid0(VALU_DEP_3) | instskip(SKIP_1) | instid1(VALU_DEP_4)
	v_subrev_co_ci_u32_e32 v10, vcc_lo, 0, v10, vcc_lo
	v_cmp_eq_f32_e32 vcc_lo, 0x7f800000, v3
	v_rcp_f64_e32 v[46:47], v[44:45]
	v_add_f64 v[52:53], v[44:45], -1.0
	s_delay_alu instid0(VALU_DEP_1) | instskip(SKIP_2) | instid1(VALU_DEP_1)
	v_add_f64 v[42:43], v[42:43], -v[52:53]
	s_waitcnt_depctr 0xfff
	v_fma_f64 v[48:49], -v[44:45], v[46:47], 1.0
	v_fma_f64 v[46:47], v[48:49], v[46:47], v[46:47]
	s_delay_alu instid0(VALU_DEP_1) | instskip(NEXT) | instid1(VALU_DEP_1)
	v_fma_f64 v[48:49], -v[44:45], v[46:47], 1.0
	v_fma_f64 v[46:47], v[48:49], v[46:47], v[46:47]
	s_delay_alu instid0(VALU_DEP_1) | instskip(NEXT) | instid1(VALU_DEP_1)
	v_mul_f64 v[48:49], v[50:51], v[46:47]
	v_mul_f64 v[54:55], v[44:45], v[48:49]
	s_delay_alu instid0(VALU_DEP_1) | instskip(NEXT) | instid1(VALU_DEP_1)
	v_fma_f64 v[44:45], v[48:49], v[44:45], -v[54:55]
	v_fma_f64 v[42:43], v[48:49], v[42:43], v[44:45]
	s_delay_alu instid0(VALU_DEP_1) | instskip(NEXT) | instid1(VALU_DEP_1)
	v_add_f64 v[44:45], v[54:55], v[42:43]
	v_add_f64 v[52:53], v[50:51], -v[44:45]
	v_add_f64 v[54:55], v[44:45], -v[54:55]
	s_delay_alu instid0(VALU_DEP_2) | instskip(NEXT) | instid1(VALU_DEP_2)
	v_add_f64 v[50:51], v[50:51], -v[52:53]
	v_add_f64 v[42:43], v[54:55], -v[42:43]
	s_delay_alu instid0(VALU_DEP_2) | instskip(NEXT) | instid1(VALU_DEP_1)
	v_add_f64 v[44:45], v[50:51], -v[44:45]
	v_add_f64 v[42:43], v[42:43], v[44:45]
	s_delay_alu instid0(VALU_DEP_1) | instskip(NEXT) | instid1(VALU_DEP_1)
	v_add_f64 v[42:43], v[52:53], v[42:43]
	v_mul_f64 v[42:43], v[46:47], v[42:43]
	s_delay_alu instid0(VALU_DEP_1) | instskip(NEXT) | instid1(VALU_DEP_1)
	v_add_f64 v[44:45], v[48:49], v[42:43]
	v_mul_f64 v[46:47], v[44:45], v[44:45]
	s_delay_alu instid0(VALU_DEP_1) | instskip(SKIP_1) | instid1(VALU_DEP_2)
	v_fma_f64 v[50:51], v[46:47], s[10:11], s[8:9]
	v_mul_f64 v[52:53], v[44:45], v[46:47]
	v_fma_f64 v[50:51], v[46:47], v[50:51], s[12:13]
	s_delay_alu instid0(VALU_DEP_1) | instskip(NEXT) | instid1(VALU_DEP_1)
	v_fma_f64 v[50:51], v[46:47], v[50:51], s[16:17]
	v_fma_f64 v[50:51], v[46:47], v[50:51], s[18:19]
	s_delay_alu instid0(VALU_DEP_1) | instskip(NEXT) | instid1(VALU_DEP_1)
	v_fma_f64 v[50:51], v[46:47], v[50:51], s[20:21]
	v_fma_f64 v[46:47], v[46:47], v[50:51], s[22:23]
	v_ldexp_f64 v[50:51], v[44:45], 1
	v_add_f64 v[44:45], v[44:45], -v[48:49]
	s_delay_alu instid0(VALU_DEP_3) | instskip(SKIP_1) | instid1(VALU_DEP_3)
	v_mul_f64 v[46:47], v[52:53], v[46:47]
	v_cvt_f64_i32_e32 v[52:53], v10
	v_add_f64 v[42:43], v[42:43], -v[44:45]
	s_delay_alu instid0(VALU_DEP_3) | instskip(NEXT) | instid1(VALU_DEP_3)
	v_add_f64 v[48:49], v[50:51], v[46:47]
	v_mul_f64 v[54:55], v[52:53], s[24:25]
	s_delay_alu instid0(VALU_DEP_3) | instskip(NEXT) | instid1(VALU_DEP_3)
	v_ldexp_f64 v[42:43], v[42:43], 1
	v_add_f64 v[44:45], v[48:49], -v[50:51]
	s_delay_alu instid0(VALU_DEP_3) | instskip(NEXT) | instid1(VALU_DEP_2)
	v_fma_f64 v[50:51], v[52:53], s[24:25], -v[54:55]
	v_add_f64 v[44:45], v[46:47], -v[44:45]
	s_delay_alu instid0(VALU_DEP_2) | instskip(NEXT) | instid1(VALU_DEP_2)
	v_fma_f64 v[46:47], v[52:53], s[26:27], v[50:51]
	v_add_f64 v[42:43], v[42:43], v[44:45]
	s_delay_alu instid0(VALU_DEP_2) | instskip(NEXT) | instid1(VALU_DEP_2)
	v_add_f64 v[44:45], v[54:55], v[46:47]
	v_add_f64 v[50:51], v[48:49], v[42:43]
	s_delay_alu instid0(VALU_DEP_2) | instskip(NEXT) | instid1(VALU_DEP_2)
	v_add_f64 v[54:55], v[44:45], -v[54:55]
	v_add_f64 v[52:53], v[44:45], v[50:51]
	v_add_f64 v[48:49], v[50:51], -v[48:49]
	s_delay_alu instid0(VALU_DEP_3) | instskip(NEXT) | instid1(VALU_DEP_3)
	v_add_f64 v[46:47], v[46:47], -v[54:55]
	v_add_f64 v[56:57], v[52:53], -v[44:45]
	s_delay_alu instid0(VALU_DEP_3) | instskip(NEXT) | instid1(VALU_DEP_2)
	v_add_f64 v[42:43], v[42:43], -v[48:49]
	v_add_f64 v[58:59], v[52:53], -v[56:57]
	;; [unrolled: 1-line block ×3, first 2 shown]
	s_delay_alu instid0(VALU_DEP_3) | instskip(NEXT) | instid1(VALU_DEP_3)
	v_add_f64 v[50:51], v[46:47], v[42:43]
	v_add_f64 v[44:45], v[44:45], -v[58:59]
	s_delay_alu instid0(VALU_DEP_1) | instskip(NEXT) | instid1(VALU_DEP_3)
	v_add_f64 v[44:45], v[48:49], v[44:45]
	v_add_f64 v[48:49], v[50:51], -v[46:47]
	s_delay_alu instid0(VALU_DEP_2) | instskip(NEXT) | instid1(VALU_DEP_2)
	v_add_f64 v[44:45], v[50:51], v[44:45]
	v_add_f64 v[50:51], v[50:51], -v[48:49]
	v_add_f64 v[42:43], v[42:43], -v[48:49]
	s_delay_alu instid0(VALU_DEP_3) | instskip(NEXT) | instid1(VALU_DEP_3)
	v_add_f64 v[54:55], v[52:53], v[44:45]
	v_add_f64 v[46:47], v[46:47], -v[50:51]
	s_delay_alu instid0(VALU_DEP_2) | instskip(NEXT) | instid1(VALU_DEP_2)
	v_add_f64 v[48:49], v[54:55], -v[52:53]
	v_add_f64 v[42:43], v[42:43], v[46:47]
	s_delay_alu instid0(VALU_DEP_2) | instskip(NEXT) | instid1(VALU_DEP_1)
	v_add_f64 v[44:45], v[44:45], -v[48:49]
	v_add_f64 v[42:43], v[42:43], v[44:45]
	s_delay_alu instid0(VALU_DEP_1) | instskip(NEXT) | instid1(VALU_DEP_1)
	v_add_f64 v[42:43], v[54:55], v[42:43]
	v_dual_cndmask_b32 v6, v43, v6 :: v_dual_cndmask_b32 v5, v42, v5
	v_cmp_neq_f32_e32 vcc_lo, 0, v3
	v_add_nc_u32_e32 v3, s29, v39
	s_delay_alu instid0(VALU_DEP_3) | instskip(NEXT) | instid1(VALU_DEP_4)
	v_cndmask_b32_e32 v6, 0xfff00000, v6, vcc_lo
	v_cndmask_b32_e32 v5, 0, v5, vcc_lo
	s_delay_alu instid0(VALU_DEP_3) | instskip(NEXT) | instid1(VALU_DEP_2)
	v_ashrrev_i32_e32 v10, 31, v3
	v_div_scale_f64 v[42:43], null, v[13:14], v[13:14], v[5:6]
	s_delay_alu instid0(VALU_DEP_1) | instskip(SKIP_2) | instid1(VALU_DEP_1)
	v_rcp_f64_e32 v[44:45], v[42:43]
	s_waitcnt_depctr 0xfff
	v_fma_f64 v[46:47], -v[42:43], v[44:45], 1.0
	v_fma_f64 v[44:45], v[44:45], v[46:47], v[44:45]
	s_delay_alu instid0(VALU_DEP_1) | instskip(NEXT) | instid1(VALU_DEP_1)
	v_fma_f64 v[46:47], -v[42:43], v[44:45], 1.0
	v_fma_f64 v[44:45], v[44:45], v[46:47], v[44:45]
	v_div_scale_f64 v[46:47], vcc_lo, v[5:6], v[13:14], v[5:6]
	s_delay_alu instid0(VALU_DEP_1) | instskip(NEXT) | instid1(VALU_DEP_1)
	v_mul_f64 v[48:49], v[46:47], v[44:45]
	v_fma_f64 v[42:43], -v[42:43], v[48:49], v[46:47]
	s_delay_alu instid0(VALU_DEP_1) | instskip(NEXT) | instid1(VALU_DEP_1)
	v_div_fmas_f64 v[42:43], v[42:43], v[44:45], v[48:49]
	v_div_fixup_f64 v[5:6], v[42:43], v[13:14], v[5:6]
	s_waitcnt lgkmcnt(0)
	v_add_co_u32 v42, vcc_lo, s0, v3
	v_add_co_ci_u32_e32 v43, vcc_lo, s1, v10, vcc_lo
	s_delay_alu instid0(VALU_DEP_3)
	v_ceil_f64_e32 v[5:6], v[5:6]
	global_store_b64 v[42:43], v[5:6], off
.LBB22_12:                              ;   in Loop: Header=BB22_8 Depth=1
	s_or_b32 exec_lo, exec_lo, s31
	v_add_co_u32 v5, vcc_lo, s14, v11
	v_add_co_ci_u32_e32 v6, vcc_lo, 0, v12, vcc_lo
	s_mov_b32 s31, exec_lo
	s_delay_alu instid0(VALU_DEP_1)
	v_cmpx_gt_i64_e64 s[4:5], v[5:6]
	s_cbranch_execz .LBB22_7
; %bb.13:                               ;   in Loop: Header=BB22_8 Depth=1
	v_cvt_f32_u32_e32 v3, v4
	s_mov_b32 s23, s7
	s_delay_alu instid0(VALU_DEP_1) | instskip(NEXT) | instid1(VALU_DEP_1)
	v_fmaak_f32 v16, 0x2f800000, v3, 0x2f800000
	v_cvt_f64_f32_e32 v[3:4], v16
	s_delay_alu instid0(VALU_DEP_1) | instskip(NEXT) | instid1(VALU_DEP_1)
	v_frexp_mant_f64_e32 v[5:6], v[3:4]
	v_cmp_gt_f64_e32 vcc_lo, s[6:7], v[5:6]
	v_cndmask_b32_e64 v10, 0x3ff00000, 2.0, vcc_lo
	s_delay_alu instid0(VALU_DEP_1) | instskip(SKIP_1) | instid1(VALU_DEP_2)
	v_mul_f64 v[5:6], v[5:6], v[9:10]
	v_frexp_exp_i32_f64_e32 v10, v[3:4]
	v_add_f64 v[42:43], v[5:6], 1.0
	v_add_f64 v[48:49], v[5:6], -1.0
	s_delay_alu instid0(VALU_DEP_3) | instskip(SKIP_1) | instid1(VALU_DEP_4)
	v_subrev_co_ci_u32_e32 v10, vcc_lo, 0, v10, vcc_lo
	v_cmp_eq_f32_e32 vcc_lo, 0x7f800000, v16
	v_rcp_f64_e32 v[44:45], v[42:43]
	v_add_f64 v[50:51], v[42:43], -1.0
	s_delay_alu instid0(VALU_DEP_1) | instskip(SKIP_2) | instid1(VALU_DEP_1)
	v_add_f64 v[5:6], v[5:6], -v[50:51]
	s_waitcnt_depctr 0xfff
	v_fma_f64 v[46:47], -v[42:43], v[44:45], 1.0
	v_fma_f64 v[44:45], v[46:47], v[44:45], v[44:45]
	s_delay_alu instid0(VALU_DEP_1) | instskip(NEXT) | instid1(VALU_DEP_1)
	v_fma_f64 v[46:47], -v[42:43], v[44:45], 1.0
	v_fma_f64 v[44:45], v[46:47], v[44:45], v[44:45]
	s_delay_alu instid0(VALU_DEP_1) | instskip(NEXT) | instid1(VALU_DEP_1)
	v_mul_f64 v[46:47], v[48:49], v[44:45]
	v_mul_f64 v[52:53], v[42:43], v[46:47]
	s_delay_alu instid0(VALU_DEP_1) | instskip(NEXT) | instid1(VALU_DEP_1)
	v_fma_f64 v[42:43], v[46:47], v[42:43], -v[52:53]
	v_fma_f64 v[5:6], v[46:47], v[5:6], v[42:43]
	s_delay_alu instid0(VALU_DEP_1) | instskip(NEXT) | instid1(VALU_DEP_1)
	v_add_f64 v[42:43], v[52:53], v[5:6]
	v_add_f64 v[50:51], v[48:49], -v[42:43]
	v_add_f64 v[52:53], v[42:43], -v[52:53]
	s_delay_alu instid0(VALU_DEP_2) | instskip(NEXT) | instid1(VALU_DEP_2)
	v_add_f64 v[48:49], v[48:49], -v[50:51]
	v_add_f64 v[5:6], v[52:53], -v[5:6]
	s_delay_alu instid0(VALU_DEP_2) | instskip(NEXT) | instid1(VALU_DEP_1)
	v_add_f64 v[42:43], v[48:49], -v[42:43]
	v_add_f64 v[5:6], v[5:6], v[42:43]
	s_delay_alu instid0(VALU_DEP_1) | instskip(NEXT) | instid1(VALU_DEP_1)
	v_add_f64 v[5:6], v[50:51], v[5:6]
	v_mul_f64 v[5:6], v[44:45], v[5:6]
	s_delay_alu instid0(VALU_DEP_1) | instskip(NEXT) | instid1(VALU_DEP_1)
	v_add_f64 v[42:43], v[46:47], v[5:6]
	v_mul_f64 v[44:45], v[42:43], v[42:43]
	s_delay_alu instid0(VALU_DEP_1) | instskip(SKIP_1) | instid1(VALU_DEP_2)
	v_fma_f64 v[48:49], v[44:45], s[10:11], s[8:9]
	v_mul_f64 v[50:51], v[42:43], v[44:45]
	v_fma_f64 v[48:49], v[44:45], v[48:49], s[12:13]
	s_delay_alu instid0(VALU_DEP_1) | instskip(NEXT) | instid1(VALU_DEP_1)
	v_fma_f64 v[48:49], v[44:45], v[48:49], s[16:17]
	v_fma_f64 v[48:49], v[44:45], v[48:49], s[18:19]
	s_delay_alu instid0(VALU_DEP_1) | instskip(NEXT) | instid1(VALU_DEP_1)
	v_fma_f64 v[48:49], v[44:45], v[48:49], s[20:21]
	v_fma_f64 v[44:45], v[44:45], v[48:49], s[22:23]
	v_ldexp_f64 v[48:49], v[42:43], 1
	v_add_f64 v[42:43], v[42:43], -v[46:47]
	s_delay_alu instid0(VALU_DEP_3) | instskip(SKIP_1) | instid1(VALU_DEP_3)
	v_mul_f64 v[44:45], v[50:51], v[44:45]
	v_cvt_f64_i32_e32 v[50:51], v10
	v_add_f64 v[5:6], v[5:6], -v[42:43]
	s_delay_alu instid0(VALU_DEP_3) | instskip(NEXT) | instid1(VALU_DEP_3)
	v_add_f64 v[46:47], v[48:49], v[44:45]
	v_mul_f64 v[52:53], v[50:51], s[24:25]
	s_delay_alu instid0(VALU_DEP_3) | instskip(NEXT) | instid1(VALU_DEP_3)
	v_ldexp_f64 v[5:6], v[5:6], 1
	v_add_f64 v[42:43], v[46:47], -v[48:49]
	s_delay_alu instid0(VALU_DEP_3) | instskip(NEXT) | instid1(VALU_DEP_2)
	v_fma_f64 v[48:49], v[50:51], s[24:25], -v[52:53]
	v_add_f64 v[42:43], v[44:45], -v[42:43]
	s_delay_alu instid0(VALU_DEP_2) | instskip(NEXT) | instid1(VALU_DEP_2)
	v_fma_f64 v[44:45], v[50:51], s[26:27], v[48:49]
	v_add_f64 v[5:6], v[5:6], v[42:43]
	s_delay_alu instid0(VALU_DEP_2) | instskip(NEXT) | instid1(VALU_DEP_2)
	v_add_f64 v[42:43], v[52:53], v[44:45]
	v_add_f64 v[48:49], v[46:47], v[5:6]
	s_delay_alu instid0(VALU_DEP_2) | instskip(NEXT) | instid1(VALU_DEP_2)
	v_add_f64 v[52:53], v[42:43], -v[52:53]
	v_add_f64 v[50:51], v[42:43], v[48:49]
	v_add_f64 v[46:47], v[48:49], -v[46:47]
	s_delay_alu instid0(VALU_DEP_3) | instskip(NEXT) | instid1(VALU_DEP_3)
	v_add_f64 v[44:45], v[44:45], -v[52:53]
	v_add_f64 v[54:55], v[50:51], -v[42:43]
	s_delay_alu instid0(VALU_DEP_3) | instskip(NEXT) | instid1(VALU_DEP_2)
	v_add_f64 v[5:6], v[5:6], -v[46:47]
	v_add_f64 v[56:57], v[50:51], -v[54:55]
	;; [unrolled: 1-line block ×3, first 2 shown]
	s_delay_alu instid0(VALU_DEP_3) | instskip(NEXT) | instid1(VALU_DEP_3)
	v_add_f64 v[48:49], v[44:45], v[5:6]
	v_add_f64 v[42:43], v[42:43], -v[56:57]
	s_delay_alu instid0(VALU_DEP_1) | instskip(NEXT) | instid1(VALU_DEP_3)
	v_add_f64 v[42:43], v[46:47], v[42:43]
	v_add_f64 v[46:47], v[48:49], -v[44:45]
	s_delay_alu instid0(VALU_DEP_2) | instskip(NEXT) | instid1(VALU_DEP_2)
	v_add_f64 v[42:43], v[48:49], v[42:43]
	v_add_f64 v[48:49], v[48:49], -v[46:47]
	v_add_f64 v[5:6], v[5:6], -v[46:47]
	s_delay_alu instid0(VALU_DEP_3) | instskip(NEXT) | instid1(VALU_DEP_3)
	v_add_f64 v[52:53], v[50:51], v[42:43]
	v_add_f64 v[44:45], v[44:45], -v[48:49]
	s_delay_alu instid0(VALU_DEP_2) | instskip(NEXT) | instid1(VALU_DEP_2)
	v_add_f64 v[46:47], v[52:53], -v[50:51]
	v_add_f64 v[5:6], v[5:6], v[44:45]
	s_delay_alu instid0(VALU_DEP_2) | instskip(NEXT) | instid1(VALU_DEP_1)
	v_add_f64 v[42:43], v[42:43], -v[46:47]
	v_add_f64 v[5:6], v[5:6], v[42:43]
	s_delay_alu instid0(VALU_DEP_1) | instskip(NEXT) | instid1(VALU_DEP_1)
	v_add_f64 v[5:6], v[52:53], v[5:6]
	v_dual_cndmask_b32 v3, v5, v3 :: v_dual_cndmask_b32 v4, v6, v4
	v_cmp_neq_f32_e32 vcc_lo, 0, v16
	s_delay_alu instid0(VALU_DEP_2) | instskip(NEXT) | instid1(VALU_DEP_3)
	v_cndmask_b32_e32 v4, 0xfff00000, v4, vcc_lo
	v_cndmask_b32_e32 v3, 0, v3, vcc_lo
	s_delay_alu instid0(VALU_DEP_1) | instskip(NEXT) | instid1(VALU_DEP_1)
	v_div_scale_f64 v[5:6], null, v[13:14], v[13:14], v[3:4]
	v_rcp_f64_e32 v[42:43], v[5:6]
	s_waitcnt_depctr 0xfff
	v_fma_f64 v[44:45], -v[5:6], v[42:43], 1.0
	s_delay_alu instid0(VALU_DEP_1) | instskip(NEXT) | instid1(VALU_DEP_1)
	v_fma_f64 v[42:43], v[42:43], v[44:45], v[42:43]
	v_fma_f64 v[44:45], -v[5:6], v[42:43], 1.0
	s_delay_alu instid0(VALU_DEP_1) | instskip(SKIP_1) | instid1(VALU_DEP_1)
	v_fma_f64 v[42:43], v[42:43], v[44:45], v[42:43]
	v_div_scale_f64 v[44:45], vcc_lo, v[3:4], v[13:14], v[3:4]
	v_mul_f64 v[46:47], v[44:45], v[42:43]
	s_delay_alu instid0(VALU_DEP_1) | instskip(NEXT) | instid1(VALU_DEP_1)
	v_fma_f64 v[5:6], -v[5:6], v[46:47], v[44:45]
	v_div_fmas_f64 v[5:6], v[5:6], v[42:43], v[46:47]
	s_delay_alu instid0(VALU_DEP_1) | instskip(SKIP_1) | instid1(VALU_DEP_1)
	v_div_fixup_f64 v[3:4], v[5:6], v[13:14], v[3:4]
	v_add_nc_u32_e32 v5, s29, v40
	v_ashrrev_i32_e32 v6, 31, v5
	s_waitcnt lgkmcnt(0)
	v_add_co_u32 v5, vcc_lo, s0, v5
	s_delay_alu instid0(VALU_DEP_2)
	v_add_co_ci_u32_e32 v6, vcc_lo, s1, v6, vcc_lo
	v_ceil_f64_e32 v[3:4], v[3:4]
	global_store_b64 v[5:6], v[3:4], off
	s_branch .LBB22_7
.LBB22_14:                              ;   in Loop: Header=BB22_8 Depth=1
	s_mov_b32 s31, exec_lo
	v_cmpx_lt_i32_e32 2, v31
	s_xor_b32 s31, exec_lo, s31
; %bb.15:                               ;   in Loop: Header=BB22_8 Depth=1
	v_dual_mov_b32 v3, v6 :: v_dual_mov_b32 v4, v0
; %bb.16:                               ;   in Loop: Header=BB22_8 Depth=1
	s_and_not1_saveexec_b32 s31, s31
; %bb.17:                               ;   in Loop: Header=BB22_8 Depth=1
	v_dual_mov_b32 v3, v5 :: v_dual_mov_b32 v4, v6
; %bb.18:                               ;   in Loop: Header=BB22_8 Depth=1
	s_or_b32 exec_lo, exec_lo, s31
	s_and_not1_saveexec_b32 s23, s23
	s_cbranch_execz .LBB22_10
.LBB22_19:                              ;   in Loop: Header=BB22_8 Depth=1
	s_mov_b32 s31, exec_lo
	v_cmpx_eq_u32_e32 1, v31
; %bb.20:                               ;   in Loop: Header=BB22_8 Depth=1
	v_dual_mov_b32 v3, v4 :: v_dual_mov_b32 v4, v5
; %bb.21:                               ;   in Loop: Header=BB22_8 Depth=1
	s_or_b32 exec_lo, exec_lo, s31
	s_delay_alu instid0(SALU_CYCLE_1) | instskip(NEXT) | instid1(SALU_CYCLE_1)
	s_or_b32 exec_lo, exec_lo, s23
	s_mov_b32 s31, exec_lo
	v_cmpx_gt_i64_e64 s[4:5], v[11:12]
	s_cbranch_execnz .LBB22_11
	s_branch .LBB22_12
.LBB22_22:
	s_endpgm
.LBB22_23:
                                        ; implicit-def: $sgpr2_sgpr3
	s_branch .LBB22_4
	.section	.rodata,"a",@progbits
	.p2align	6, 0x0
	.amdhsa_kernel _ZN2at6native12_GLOBAL__N_143distribution_elementwise_grid_stride_kernelIdLi2EZNS0_9templates4cuda21uniform_and_transformIddPNS_17CUDAGeneratorImplEZZZNS4_16geometric_kernelIS7_EEvRNS_18TensorIteratorBaseEdT_ENKUlvE_clEvENKUlvE4_clEvEUldE_EEvSA_T1_T2_EUlP25hiprandStatePhilox4_32_10E0_ZNS1_27distribution_nullary_kernelIdd15HIP_vector_typeIfLj4EES7_SJ_SE_EEvSA_SG_RKT3_T4_EUlidE_EEvlNS_15PhiloxCudaStateESF_SG_
		.amdhsa_group_segment_fixed_size 0
		.amdhsa_private_segment_fixed_size 0
		.amdhsa_kernarg_size 328
		.amdhsa_user_sgpr_count 15
		.amdhsa_user_sgpr_dispatch_ptr 0
		.amdhsa_user_sgpr_queue_ptr 0
		.amdhsa_user_sgpr_kernarg_segment_ptr 1
		.amdhsa_user_sgpr_dispatch_id 0
		.amdhsa_user_sgpr_private_segment_size 0
		.amdhsa_wavefront_size32 1
		.amdhsa_uses_dynamic_stack 0
		.amdhsa_enable_private_segment 0
		.amdhsa_system_sgpr_workgroup_id_x 1
		.amdhsa_system_sgpr_workgroup_id_y 0
		.amdhsa_system_sgpr_workgroup_id_z 0
		.amdhsa_system_sgpr_workgroup_info 0
		.amdhsa_system_vgpr_workitem_id 0
		.amdhsa_next_free_vgpr 60
		.amdhsa_next_free_sgpr 35
		.amdhsa_reserve_vcc 1
		.amdhsa_float_round_mode_32 0
		.amdhsa_float_round_mode_16_64 0
		.amdhsa_float_denorm_mode_32 3
		.amdhsa_float_denorm_mode_16_64 3
		.amdhsa_dx10_clamp 1
		.amdhsa_ieee_mode 1
		.amdhsa_fp16_overflow 0
		.amdhsa_workgroup_processor_mode 1
		.amdhsa_memory_ordered 1
		.amdhsa_forward_progress 0
		.amdhsa_shared_vgpr_count 0
		.amdhsa_exception_fp_ieee_invalid_op 0
		.amdhsa_exception_fp_denorm_src 0
		.amdhsa_exception_fp_ieee_div_zero 0
		.amdhsa_exception_fp_ieee_overflow 0
		.amdhsa_exception_fp_ieee_underflow 0
		.amdhsa_exception_fp_ieee_inexact 0
		.amdhsa_exception_int_div_zero 0
	.end_amdhsa_kernel
	.section	.text._ZN2at6native12_GLOBAL__N_143distribution_elementwise_grid_stride_kernelIdLi2EZNS0_9templates4cuda21uniform_and_transformIddPNS_17CUDAGeneratorImplEZZZNS4_16geometric_kernelIS7_EEvRNS_18TensorIteratorBaseEdT_ENKUlvE_clEvENKUlvE4_clEvEUldE_EEvSA_T1_T2_EUlP25hiprandStatePhilox4_32_10E0_ZNS1_27distribution_nullary_kernelIdd15HIP_vector_typeIfLj4EES7_SJ_SE_EEvSA_SG_RKT3_T4_EUlidE_EEvlNS_15PhiloxCudaStateESF_SG_,"axG",@progbits,_ZN2at6native12_GLOBAL__N_143distribution_elementwise_grid_stride_kernelIdLi2EZNS0_9templates4cuda21uniform_and_transformIddPNS_17CUDAGeneratorImplEZZZNS4_16geometric_kernelIS7_EEvRNS_18TensorIteratorBaseEdT_ENKUlvE_clEvENKUlvE4_clEvEUldE_EEvSA_T1_T2_EUlP25hiprandStatePhilox4_32_10E0_ZNS1_27distribution_nullary_kernelIdd15HIP_vector_typeIfLj4EES7_SJ_SE_EEvSA_SG_RKT3_T4_EUlidE_EEvlNS_15PhiloxCudaStateESF_SG_,comdat
.Lfunc_end22:
	.size	_ZN2at6native12_GLOBAL__N_143distribution_elementwise_grid_stride_kernelIdLi2EZNS0_9templates4cuda21uniform_and_transformIddPNS_17CUDAGeneratorImplEZZZNS4_16geometric_kernelIS7_EEvRNS_18TensorIteratorBaseEdT_ENKUlvE_clEvENKUlvE4_clEvEUldE_EEvSA_T1_T2_EUlP25hiprandStatePhilox4_32_10E0_ZNS1_27distribution_nullary_kernelIdd15HIP_vector_typeIfLj4EES7_SJ_SE_EEvSA_SG_RKT3_T4_EUlidE_EEvlNS_15PhiloxCudaStateESF_SG_, .Lfunc_end22-_ZN2at6native12_GLOBAL__N_143distribution_elementwise_grid_stride_kernelIdLi2EZNS0_9templates4cuda21uniform_and_transformIddPNS_17CUDAGeneratorImplEZZZNS4_16geometric_kernelIS7_EEvRNS_18TensorIteratorBaseEdT_ENKUlvE_clEvENKUlvE4_clEvEUldE_EEvSA_T1_T2_EUlP25hiprandStatePhilox4_32_10E0_ZNS1_27distribution_nullary_kernelIdd15HIP_vector_typeIfLj4EES7_SJ_SE_EEvSA_SG_RKT3_T4_EUlidE_EEvlNS_15PhiloxCudaStateESF_SG_
                                        ; -- End function
	.section	.AMDGPU.csdata,"",@progbits
; Kernel info:
; codeLenInByte = 5600
; NumSgprs: 37
; NumVgprs: 60
; ScratchSize: 0
; MemoryBound: 0
; FloatMode: 240
; IeeeMode: 1
; LDSByteSize: 0 bytes/workgroup (compile time only)
; SGPRBlocks: 4
; VGPRBlocks: 7
; NumSGPRsForWavesPerEU: 37
; NumVGPRsForWavesPerEU: 60
; Occupancy: 16
; WaveLimiterHint : 0
; COMPUTE_PGM_RSRC2:SCRATCH_EN: 0
; COMPUTE_PGM_RSRC2:USER_SGPR: 15
; COMPUTE_PGM_RSRC2:TRAP_HANDLER: 0
; COMPUTE_PGM_RSRC2:TGID_X_EN: 1
; COMPUTE_PGM_RSRC2:TGID_Y_EN: 0
; COMPUTE_PGM_RSRC2:TGID_Z_EN: 0
; COMPUTE_PGM_RSRC2:TIDIG_COMP_CNT: 0
	.section	.text._ZN2at6native12_GLOBAL__N_143distribution_elementwise_grid_stride_kernelIdLi2EZNS0_9templates4cuda21uniform_and_transformIddPNS_17CUDAGeneratorImplEZZZNS4_16geometric_kernelIS7_EEvRNS_18TensorIteratorBaseEdT_ENKUlvE_clEvENKUlvE4_clEvEUldE_EEvSA_T1_T2_EUlP25hiprandStatePhilox4_32_10E0_ZNS1_27distribution_nullary_kernelIdd15HIP_vector_typeIfLj4EES7_SJ_SE_EEvSA_SG_RKT3_T4_EUlidE0_EEvlNS_15PhiloxCudaStateESF_SG_,"axG",@progbits,_ZN2at6native12_GLOBAL__N_143distribution_elementwise_grid_stride_kernelIdLi2EZNS0_9templates4cuda21uniform_and_transformIddPNS_17CUDAGeneratorImplEZZZNS4_16geometric_kernelIS7_EEvRNS_18TensorIteratorBaseEdT_ENKUlvE_clEvENKUlvE4_clEvEUldE_EEvSA_T1_T2_EUlP25hiprandStatePhilox4_32_10E0_ZNS1_27distribution_nullary_kernelIdd15HIP_vector_typeIfLj4EES7_SJ_SE_EEvSA_SG_RKT3_T4_EUlidE0_EEvlNS_15PhiloxCudaStateESF_SG_,comdat
	.globl	_ZN2at6native12_GLOBAL__N_143distribution_elementwise_grid_stride_kernelIdLi2EZNS0_9templates4cuda21uniform_and_transformIddPNS_17CUDAGeneratorImplEZZZNS4_16geometric_kernelIS7_EEvRNS_18TensorIteratorBaseEdT_ENKUlvE_clEvENKUlvE4_clEvEUldE_EEvSA_T1_T2_EUlP25hiprandStatePhilox4_32_10E0_ZNS1_27distribution_nullary_kernelIdd15HIP_vector_typeIfLj4EES7_SJ_SE_EEvSA_SG_RKT3_T4_EUlidE0_EEvlNS_15PhiloxCudaStateESF_SG_ ; -- Begin function _ZN2at6native12_GLOBAL__N_143distribution_elementwise_grid_stride_kernelIdLi2EZNS0_9templates4cuda21uniform_and_transformIddPNS_17CUDAGeneratorImplEZZZNS4_16geometric_kernelIS7_EEvRNS_18TensorIteratorBaseEdT_ENKUlvE_clEvENKUlvE4_clEvEUldE_EEvSA_T1_T2_EUlP25hiprandStatePhilox4_32_10E0_ZNS1_27distribution_nullary_kernelIdd15HIP_vector_typeIfLj4EES7_SJ_SE_EEvSA_SG_RKT3_T4_EUlidE0_EEvlNS_15PhiloxCudaStateESF_SG_
	.p2align	8
	.type	_ZN2at6native12_GLOBAL__N_143distribution_elementwise_grid_stride_kernelIdLi2EZNS0_9templates4cuda21uniform_and_transformIddPNS_17CUDAGeneratorImplEZZZNS4_16geometric_kernelIS7_EEvRNS_18TensorIteratorBaseEdT_ENKUlvE_clEvENKUlvE4_clEvEUldE_EEvSA_T1_T2_EUlP25hiprandStatePhilox4_32_10E0_ZNS1_27distribution_nullary_kernelIdd15HIP_vector_typeIfLj4EES7_SJ_SE_EEvSA_SG_RKT3_T4_EUlidE0_EEvlNS_15PhiloxCudaStateESF_SG_,@function
_ZN2at6native12_GLOBAL__N_143distribution_elementwise_grid_stride_kernelIdLi2EZNS0_9templates4cuda21uniform_and_transformIddPNS_17CUDAGeneratorImplEZZZNS4_16geometric_kernelIS7_EEvRNS_18TensorIteratorBaseEdT_ENKUlvE_clEvENKUlvE4_clEvEUldE_EEvSA_T1_T2_EUlP25hiprandStatePhilox4_32_10E0_ZNS1_27distribution_nullary_kernelIdd15HIP_vector_typeIfLj4EES7_SJ_SE_EEvSA_SG_RKT3_T4_EUlidE0_EEvlNS_15PhiloxCudaStateESF_SG_: ; @_ZN2at6native12_GLOBAL__N_143distribution_elementwise_grid_stride_kernelIdLi2EZNS0_9templates4cuda21uniform_and_transformIddPNS_17CUDAGeneratorImplEZZZNS4_16geometric_kernelIS7_EEvRNS_18TensorIteratorBaseEdT_ENKUlvE_clEvENKUlvE4_clEvEUldE_EEvSA_T1_T2_EUlP25hiprandStatePhilox4_32_10E0_ZNS1_27distribution_nullary_kernelIdd15HIP_vector_typeIfLj4EES7_SJ_SE_EEvSA_SG_RKT3_T4_EUlidE0_EEvlNS_15PhiloxCudaStateESF_SG_
; %bb.0:
	s_clause 0x2
	s_load_b64 s[4:5], s[0:1], 0x10
	s_load_b128 s[16:19], s[0:1], 0x0
	s_load_b32 s2, s[0:1], 0x20
	s_waitcnt lgkmcnt(0)
	v_dual_mov_b32 v2, s4 :: v_dual_mov_b32 v3, s5
	v_dual_mov_b32 v7, s18 :: v_dual_mov_b32 v8, s19
	s_bitcmp0_b32 s2, 0
	s_mov_b32 s2, 0
	s_cbranch_scc1 .LBB23_2
; %bb.1:
	v_dual_mov_b32 v1, s4 :: v_dual_mov_b32 v2, s5
	v_dual_mov_b32 v4, s18 :: v_dual_mov_b32 v5, s19
	s_load_b64 s[4:5], s[0:1], 0x18
	flat_load_b64 v[2:3], v[1:2]
	flat_load_b64 v[7:8], v[4:5]
	s_waitcnt vmcnt(1) lgkmcnt(0)
	v_add_co_u32 v2, vcc_lo, v2, s4
	v_add_co_ci_u32_e32 v3, vcc_lo, s5, v3, vcc_lo
.LBB23_2:
	s_clause 0x1
	s_load_b32 s3, s[0:1], 0x154
	s_load_b32 s5, s[0:1], 0x148
	s_waitcnt lgkmcnt(0)
	s_and_b32 s4, s3, 0xffff
	s_add_u32 s6, s16, -1
	s_mul_i32 s33, s5, s4
	s_addc_u32 s3, s17, -1
	s_lshl_b32 s46, s33, 1
	s_cmp_lg_u64 s[2:3], 0
	s_cbranch_scc0 .LBB23_49
; %bb.3:
	v_cvt_f32_ubyte0_e32 v1, 0
	v_cvt_f32_u32_e32 v4, s46
	s_sub_u32 s8, 0, s46
	s_subb_u32 s9, 0, 0
	s_delay_alu instid0(VALU_DEP_1) | instskip(NEXT) | instid1(VALU_DEP_1)
	v_fmamk_f32 v1, v1, 0x4f800000, v4
	v_rcp_f32_e32 v1, v1
	s_waitcnt_depctr 0xfff
	v_mul_f32_e32 v1, 0x5f7ffffc, v1
	s_delay_alu instid0(VALU_DEP_1) | instskip(NEXT) | instid1(VALU_DEP_1)
	v_mul_f32_e32 v4, 0x2f800000, v1
	v_trunc_f32_e32 v4, v4
	s_delay_alu instid0(VALU_DEP_1) | instskip(SKIP_1) | instid1(VALU_DEP_2)
	v_fmamk_f32 v1, v4, 0xcf800000, v1
	v_cvt_u32_f32_e32 v4, v4
	v_cvt_u32_f32_e32 v1, v1
	s_delay_alu instid0(VALU_DEP_2) | instskip(NEXT) | instid1(VALU_DEP_2)
	v_readfirstlane_b32 s2, v4
	v_readfirstlane_b32 s7, v1
	s_delay_alu instid0(VALU_DEP_2) | instskip(NEXT) | instid1(VALU_DEP_1)
	s_mul_i32 s10, s8, s2
	s_mul_hi_u32 s12, s8, s7
	s_mul_i32 s11, s9, s7
	s_add_i32 s10, s12, s10
	s_mul_i32 s13, s8, s7
	s_add_i32 s10, s10, s11
	s_mul_hi_u32 s12, s7, s13
	s_mul_hi_u32 s14, s2, s13
	s_mul_i32 s11, s2, s13
	s_mul_hi_u32 s13, s7, s10
	s_mul_i32 s7, s7, s10
	s_mul_hi_u32 s18, s2, s10
	s_add_u32 s7, s12, s7
	s_addc_u32 s12, 0, s13
	s_add_u32 s7, s7, s11
	s_mul_i32 s10, s2, s10
	s_addc_u32 s7, s12, s14
	s_addc_u32 s11, s18, 0
	s_add_u32 s7, s7, s10
	s_addc_u32 s10, 0, s11
	v_add_co_u32 v1, s7, v1, s7
	s_delay_alu instid0(VALU_DEP_1) | instskip(SKIP_1) | instid1(VALU_DEP_1)
	s_cmp_lg_u32 s7, 0
	s_addc_u32 s2, s2, s10
	v_readfirstlane_b32 s7, v1
	s_mul_i32 s10, s8, s2
	s_delay_alu instid0(VALU_DEP_1)
	s_mul_hi_u32 s11, s8, s7
	s_mul_i32 s9, s9, s7
	s_add_i32 s10, s11, s10
	s_mul_i32 s8, s8, s7
	s_add_i32 s10, s10, s9
	s_mul_hi_u32 s11, s2, s8
	s_mul_i32 s12, s2, s8
	s_mul_hi_u32 s8, s7, s8
	s_mul_hi_u32 s13, s7, s10
	s_mul_i32 s7, s7, s10
	s_mul_hi_u32 s9, s2, s10
	s_add_u32 s7, s8, s7
	s_addc_u32 s8, 0, s13
	s_add_u32 s7, s7, s12
	s_mul_i32 s10, s2, s10
	s_addc_u32 s7, s8, s11
	s_addc_u32 s8, s9, 0
	s_add_u32 s7, s7, s10
	s_addc_u32 s8, 0, s8
	v_add_co_u32 v1, s7, v1, s7
	s_delay_alu instid0(VALU_DEP_1) | instskip(SKIP_2) | instid1(VALU_DEP_1)
	s_cmp_lg_u32 s7, 0
	s_addc_u32 s7, s2, s8
	s_ashr_i32 s8, s3, 31
	v_readfirstlane_b32 s10, v1
	s_add_u32 s2, s6, s8
	s_mov_b32 s9, s8
	s_addc_u32 s3, s3, s8
	s_delay_alu instid0(SALU_CYCLE_1) | instskip(NEXT) | instid1(SALU_CYCLE_1)
	s_xor_b64 s[2:3], s[2:3], s[8:9]
	s_mul_i32 s12, s2, s7
	s_mul_hi_u32 s13, s2, s10
	s_mul_hi_u32 s11, s2, s7
	;; [unrolled: 1-line block ×3, first 2 shown]
	s_mul_i32 s10, s3, s10
	s_add_u32 s12, s13, s12
	s_addc_u32 s11, 0, s11
	s_mul_hi_u32 s14, s3, s7
	s_add_u32 s10, s12, s10
	s_mul_i32 s7, s3, s7
	s_addc_u32 s10, s11, s18
	s_addc_u32 s11, s14, 0
	s_add_u32 s7, s10, s7
	s_addc_u32 s10, 0, s11
	s_mul_i32 s12, s46, s7
	s_add_u32 s11, s7, 1
	v_sub_co_u32 v1, s2, s2, s12
	s_mul_hi_u32 s12, s46, s7
	s_addc_u32 s13, s10, 0
	s_mul_i32 s14, s46, s10
	s_delay_alu instid0(VALU_DEP_1)
	v_sub_co_u32 v4, s18, v1, s46
	s_add_u32 s19, s7, 2
	s_addc_u32 s20, s10, 0
	s_add_i32 s12, s12, s14
	s_cmp_lg_u32 s2, 0
	v_readfirstlane_b32 s2, v4
	s_subb_u32 s3, s3, s12
	s_cmp_lg_u32 s18, 0
	s_subb_u32 s12, s3, 0
	s_delay_alu instid0(VALU_DEP_1) | instskip(SKIP_4) | instid1(SALU_CYCLE_1)
	s_cmp_ge_u32 s2, s46
	s_cselect_b32 s2, -1, 0
	s_cmp_eq_u32 s12, 0
	v_readfirstlane_b32 s12, v1
	s_cselect_b32 s2, s2, -1
	s_cmp_lg_u32 s2, 0
	s_cselect_b32 s2, s19, s11
	s_cselect_b32 s11, s20, s13
	s_cmp_ge_u32 s12, s46
	s_cselect_b32 s12, -1, 0
	s_cmp_eq_u32 s3, 0
	s_cselect_b32 s3, s12, -1
	s_delay_alu instid0(SALU_CYCLE_1) | instskip(SKIP_2) | instid1(SALU_CYCLE_1)
	s_cmp_lg_u32 s3, 0
	s_cselect_b32 s3, s11, s10
	s_cselect_b32 s2, s2, s7
	s_xor_b64 s[2:3], s[2:3], s[8:9]
	s_delay_alu instid0(SALU_CYCLE_1)
	s_sub_u32 s2, s2, s8
	s_subb_u32 s3, s3, s8
	s_cbranch_execnz .LBB23_5
.LBB23_4:
	v_cvt_f32_u32_e32 v1, s46
	s_sub_i32 s3, 0, s46
	s_delay_alu instid0(VALU_DEP_1) | instskip(SKIP_2) | instid1(VALU_DEP_1)
	v_rcp_iflag_f32_e32 v1, v1
	s_waitcnt_depctr 0xfff
	v_mul_f32_e32 v1, 0x4f7ffffe, v1
	v_cvt_u32_f32_e32 v1, v1
	s_delay_alu instid0(VALU_DEP_1) | instskip(NEXT) | instid1(VALU_DEP_1)
	v_readfirstlane_b32 s2, v1
	s_mul_i32 s3, s3, s2
	s_delay_alu instid0(SALU_CYCLE_1) | instskip(NEXT) | instid1(SALU_CYCLE_1)
	s_mul_hi_u32 s3, s2, s3
	s_add_i32 s2, s2, s3
	s_delay_alu instid0(SALU_CYCLE_1) | instskip(NEXT) | instid1(SALU_CYCLE_1)
	s_mul_hi_u32 s2, s6, s2
	s_mul_i32 s3, s2, s46
	s_delay_alu instid0(SALU_CYCLE_1)
	s_sub_i32 s3, s6, s3
	s_add_i32 s6, s2, 1
	s_sub_i32 s7, s3, s46
	s_cmp_ge_u32 s3, s46
	s_cselect_b32 s2, s6, s2
	s_cselect_b32 s3, s7, s3
	s_add_i32 s6, s2, 1
	s_cmp_ge_u32 s3, s46
	s_mov_b32 s3, 0
	s_cselect_b32 s2, s6, s2
.LBB23_5:
	v_mov_b32_e32 v9, 0
	s_add_u32 s2, s2, 1
	s_addc_u32 s3, s3, 0
	s_mul_hi_u32 s5, s5, s4
	s_mul_hi_u32 s6, s33, s2
	v_mov_b32_e32 v1, v9
	s_mul_i32 s3, s33, s3
	s_mul_i32 s5, s5, s2
	s_add_i32 s3, s6, s3
	s_mul_i32 s2, s33, s2
	v_mad_u64_u32 v[11:12], null, s4, s15, v[0:1]
	s_add_i32 s3, s3, s5
	s_mov_b32 s4, exec_lo
	s_lshl_b64 s[2:3], s[2:3], 1
	s_delay_alu instid0(VALU_DEP_1) | instid1(SALU_CYCLE_1)
	v_cmpx_gt_i64_e64 s[2:3], v[11:12]
	s_cbranch_execz .LBB23_48
; %bb.6:
	s_clause 0x1
	s_load_b128 s[12:15], s[0:1], 0x138
	s_load_b64 s[40:41], s[0:1], 0xf4
	s_mov_b32 s18, 0x55555555
	s_mov_b32 s19, 0x3fe55555
	;; [unrolled: 1-line block ×18, first 2 shown]
	s_waitcnt lgkmcnt(0)
	v_add_f64 v[0:1], -s[14:15], 1.0
	s_mov_b32 s38, 0x3b39803f
	s_mov_b32 s39, 0x3c7abc9e
	v_cmp_eq_f64_e64 s44, 0xfff00000, s[14:15]
	s_load_b256 s[4:11], s[0:1], 0x30
	s_waitcnt vmcnt(0)
	v_add_co_u32 v32, null, 0x1715609d, v7
	s_add_u32 s42, s0, 48
	s_addc_u32 s43, s1, 0
	v_add_co_u32 v33, null, 0xb54cda56, v7
	s_mov_b32 s47, 0
	v_mov_b32_e32 v38, v11
	v_frexp_mant_f64_e32 v[4:5], v[0:1]
	v_frexp_exp_i32_f64_e32 v6, v[0:1]
	v_add_f64 v[13:14], v[0:1], -1.0
	s_delay_alu instid0(VALU_DEP_3) | instskip(NEXT) | instid1(VALU_DEP_2)
	v_cmp_gt_f64_e32 vcc_lo, s[18:19], v[4:5]
	v_add_f64 v[4:5], v[13:14], -v[0:1]
	v_add_f64 v[13:14], -s[14:15], -v[13:14]
	v_subrev_co_ci_u32_e32 v6, vcc_lo, 0, v6, vcc_lo
	s_delay_alu instid0(VALU_DEP_3) | instskip(SKIP_1) | instid1(VALU_DEP_3)
	v_add_f64 v[4:5], v[4:5], 1.0
	v_cmp_ngt_f64_e64 vcc_lo, s[14:15], 1.0
	v_sub_nc_u32_e32 v10, 0, v6
	s_delay_alu instid0(VALU_DEP_1) | instskip(NEXT) | instid1(VALU_DEP_4)
	v_ldexp_f64 v[0:1], v[0:1], v10
	v_add_f64 v[4:5], v[13:14], v[4:5]
	s_delay_alu instid0(VALU_DEP_2) | instskip(SKIP_1) | instid1(VALU_DEP_3)
	v_add_f64 v[15:16], v[0:1], 1.0
	v_add_f64 v[21:22], v[0:1], -1.0
	v_ldexp_f64 v[4:5], v[4:5], v10
	v_mov_b32_e32 v10, v8
	s_delay_alu instid0(VALU_DEP_4) | instskip(NEXT) | instid1(VALU_DEP_4)
	v_add_f64 v[13:14], v[15:16], -1.0
	v_add_f64 v[23:24], v[21:22], 1.0
	s_delay_alu instid0(VALU_DEP_2) | instskip(NEXT) | instid1(VALU_DEP_2)
	v_add_f64 v[13:14], v[0:1], -v[13:14]
	v_add_f64 v[0:1], v[0:1], -v[23:24]
	s_delay_alu instid0(VALU_DEP_2) | instskip(NEXT) | instid1(VALU_DEP_2)
	v_add_f64 v[13:14], v[4:5], v[13:14]
	v_add_f64 v[0:1], v[4:5], v[0:1]
	s_delay_alu instid0(VALU_DEP_2) | instskip(NEXT) | instid1(VALU_DEP_2)
	v_add_f64 v[17:18], v[15:16], v[13:14]
	v_add_f64 v[23:24], v[21:22], v[0:1]
	s_delay_alu instid0(VALU_DEP_2) | instskip(SKIP_1) | instid1(VALU_DEP_2)
	v_rcp_f64_e32 v[19:20], v[17:18]
	v_add_f64 v[15:16], v[17:18], -v[15:16]
	v_add_f64 v[21:22], v[23:24], -v[21:22]
	s_delay_alu instid0(VALU_DEP_2) | instskip(SKIP_3) | instid1(VALU_DEP_2)
	v_add_f64 v[13:14], v[13:14], -v[15:16]
	s_waitcnt_depctr 0xfff
	v_fma_f64 v[25:26], -v[17:18], v[19:20], 1.0
	v_add_f64 v[0:1], v[0:1], -v[21:22]
	v_fma_f64 v[19:20], v[25:26], v[19:20], v[19:20]
	s_delay_alu instid0(VALU_DEP_1) | instskip(NEXT) | instid1(VALU_DEP_1)
	v_fma_f64 v[4:5], -v[17:18], v[19:20], 1.0
	v_fma_f64 v[4:5], v[4:5], v[19:20], v[19:20]
	s_delay_alu instid0(VALU_DEP_1) | instskip(NEXT) | instid1(VALU_DEP_1)
	v_mul_f64 v[19:20], v[23:24], v[4:5]
	v_mul_f64 v[25:26], v[17:18], v[19:20]
	s_delay_alu instid0(VALU_DEP_1) | instskip(NEXT) | instid1(VALU_DEP_1)
	v_fma_f64 v[15:16], v[19:20], v[17:18], -v[25:26]
	v_fma_f64 v[15:16], v[19:20], v[13:14], v[15:16]
	s_delay_alu instid0(VALU_DEP_1) | instskip(NEXT) | instid1(VALU_DEP_1)
	v_add_f64 v[27:28], v[25:26], v[15:16]
	v_add_f64 v[29:30], v[23:24], -v[27:28]
	v_add_f64 v[21:22], v[27:28], -v[25:26]
	s_delay_alu instid0(VALU_DEP_2) | instskip(NEXT) | instid1(VALU_DEP_2)
	v_add_f64 v[23:24], v[23:24], -v[29:30]
	v_add_f64 v[15:16], v[21:22], -v[15:16]
	s_delay_alu instid0(VALU_DEP_2) | instskip(NEXT) | instid1(VALU_DEP_1)
	v_add_f64 v[23:24], v[23:24], -v[27:28]
	v_add_f64 v[0:1], v[0:1], v[23:24]
	s_delay_alu instid0(VALU_DEP_1) | instskip(NEXT) | instid1(VALU_DEP_1)
	v_add_f64 v[0:1], v[15:16], v[0:1]
	v_add_f64 v[15:16], v[29:30], v[0:1]
	s_delay_alu instid0(VALU_DEP_1) | instskip(SKIP_1) | instid1(VALU_DEP_2)
	v_mul_f64 v[21:22], v[4:5], v[15:16]
	v_add_f64 v[27:28], v[29:30], -v[15:16]
	v_mul_f64 v[23:24], v[17:18], v[21:22]
	s_delay_alu instid0(VALU_DEP_2) | instskip(SKIP_1) | instid1(VALU_DEP_3)
	v_add_f64 v[0:1], v[0:1], v[27:28]
	v_add_nc_u32_e32 v27, 0x8ff34781, v7
	v_fma_f64 v[17:18], v[21:22], v[17:18], -v[23:24]
	s_delay_alu instid0(VALU_DEP_1) | instskip(NEXT) | instid1(VALU_DEP_1)
	v_fma_f64 v[13:14], v[21:22], v[13:14], v[17:18]
	v_add_f64 v[17:18], v[23:24], v[13:14]
	s_delay_alu instid0(VALU_DEP_1) | instskip(SKIP_1) | instid1(VALU_DEP_2)
	v_add_f64 v[25:26], v[15:16], -v[17:18]
	v_add_f64 v[23:24], v[17:18], -v[23:24]
	;; [unrolled: 1-line block ×3, first 2 shown]
	s_delay_alu instid0(VALU_DEP_2) | instskip(NEXT) | instid1(VALU_DEP_2)
	v_add_f64 v[13:14], v[23:24], -v[13:14]
	v_add_f64 v[15:16], v[15:16], -v[17:18]
	s_delay_alu instid0(VALU_DEP_1) | instskip(SKIP_1) | instid1(VALU_DEP_2)
	v_add_f64 v[0:1], v[0:1], v[15:16]
	v_add_f64 v[15:16], v[19:20], v[21:22]
	;; [unrolled: 1-line block ×3, first 2 shown]
	s_delay_alu instid0(VALU_DEP_2) | instskip(NEXT) | instid1(VALU_DEP_2)
	v_add_f64 v[13:14], v[15:16], -v[19:20]
	v_add_f64 v[0:1], v[25:26], v[0:1]
	s_delay_alu instid0(VALU_DEP_2) | instskip(NEXT) | instid1(VALU_DEP_2)
	v_add_f64 v[13:14], v[21:22], -v[13:14]
	v_mul_f64 v[0:1], v[4:5], v[0:1]
	s_delay_alu instid0(VALU_DEP_1) | instskip(NEXT) | instid1(VALU_DEP_1)
	v_add_f64 v[0:1], v[13:14], v[0:1]
	v_add_f64 v[4:5], v[15:16], v[0:1]
	s_delay_alu instid0(VALU_DEP_1) | instskip(NEXT) | instid1(VALU_DEP_1)
	v_mul_f64 v[13:14], v[4:5], v[4:5]
	v_fma_f64 v[17:18], v[13:14], s[22:23], s[20:21]
	v_mul_f64 v[19:20], v[4:5], v[13:14]
	s_delay_alu instid0(VALU_DEP_2) | instskip(NEXT) | instid1(VALU_DEP_1)
	v_fma_f64 v[17:18], v[13:14], v[17:18], s[24:25]
	v_fma_f64 v[17:18], v[13:14], v[17:18], s[26:27]
	s_delay_alu instid0(VALU_DEP_1) | instskip(NEXT) | instid1(VALU_DEP_1)
	v_fma_f64 v[17:18], v[13:14], v[17:18], s[28:29]
	v_fma_f64 v[17:18], v[13:14], v[17:18], s[30:31]
	s_delay_alu instid0(VALU_DEP_1) | instskip(SKIP_4) | instid1(SALU_CYCLE_1)
	v_fma_f64 v[13:14], v[13:14], v[17:18], s[34:35]
	v_ldexp_f64 v[17:18], v[4:5], 1
	v_add_f64 v[4:5], v[4:5], -v[15:16]
	s_waitcnt lgkmcnt(0)
	s_add_i32 s35, s4, -1
	s_cmp_gt_u32 s35, 1
	s_cselect_b32 s11, -1, 0
	s_cmp_lg_u32 s4, 0
	s_cselect_b32 s48, -1, 0
	s_add_u32 s0, s0, 0xf4
	s_addc_u32 s1, s1, 0
	s_min_u32 s45, s35, 15
	s_cmp_gt_u32 s4, 1
	s_cselect_b32 s4, -1, 0
	s_xor_b32 s51, s15, 0x80000000
	s_add_i32 s45, s45, 1
	s_delay_alu instid0(SALU_CYCLE_1) | instskip(SKIP_2) | instid1(VALU_DEP_3)
	s_and_b32 s49, s45, 3
	s_cmp_lg_u32 s35, 2
	s_cselect_b32 s50, -1, 0
	v_mul_f64 v[13:14], v[19:20], v[13:14]
	v_cvt_f64_i32_e32 v[19:20], v6
	s_delay_alu instid0(VALU_DEP_3) | instskip(NEXT) | instid1(VALU_DEP_3)
	v_add_f64 v[0:1], v[0:1], -v[4:5]
	v_add_f64 v[15:16], v[17:18], v[13:14]
	s_delay_alu instid0(VALU_DEP_3) | instskip(NEXT) | instid1(VALU_DEP_3)
	v_mul_f64 v[21:22], v[19:20], s[36:37]
	v_ldexp_f64 v[0:1], v[0:1], 1
	s_delay_alu instid0(VALU_DEP_3) | instskip(NEXT) | instid1(VALU_DEP_3)
	v_add_f64 v[4:5], v[15:16], -v[17:18]
	v_fma_f64 v[17:18], v[19:20], s[36:37], -v[21:22]
	s_delay_alu instid0(VALU_DEP_2) | instskip(NEXT) | instid1(VALU_DEP_2)
	v_add_f64 v[4:5], v[13:14], -v[4:5]
	v_fma_f64 v[13:14], v[19:20], s[38:39], v[17:18]
	s_delay_alu instid0(VALU_DEP_2) | instskip(NEXT) | instid1(VALU_DEP_2)
	v_add_f64 v[0:1], v[0:1], v[4:5]
	v_add_f64 v[4:5], v[21:22], v[13:14]
	s_delay_alu instid0(VALU_DEP_2) | instskip(NEXT) | instid1(VALU_DEP_2)
	v_add_f64 v[17:18], v[15:16], v[0:1]
	v_add_f64 v[21:22], v[4:5], -v[21:22]
	s_delay_alu instid0(VALU_DEP_2) | instskip(SKIP_1) | instid1(VALU_DEP_3)
	v_add_f64 v[19:20], v[4:5], v[17:18]
	v_add_f64 v[15:16], v[17:18], -v[15:16]
	v_add_f64 v[13:14], v[13:14], -v[21:22]
	v_mad_u64_u32 v[21:22], null, 0xcd9e8d57, v11, 0
	s_delay_alu instid0(VALU_DEP_4) | instskip(NEXT) | instid1(VALU_DEP_4)
	v_add_f64 v[23:24], v[19:20], -v[4:5]
	v_add_f64 v[0:1], v[0:1], -v[15:16]
	s_delay_alu instid0(VALU_DEP_2) | instskip(SKIP_1) | instid1(VALU_DEP_3)
	v_add_f64 v[25:26], v[19:20], -v[23:24]
	v_add_f64 v[15:16], v[17:18], -v[23:24]
	v_add_f64 v[17:18], v[13:14], v[0:1]
	s_delay_alu instid0(VALU_DEP_3) | instskip(SKIP_1) | instid1(VALU_DEP_2)
	v_add_f64 v[4:5], v[4:5], -v[25:26]
	v_add_co_u32 v26, null, 0x78dde6e4, v7
	v_add_f64 v[4:5], v[15:16], v[4:5]
	s_delay_alu instid0(VALU_DEP_4) | instskip(NEXT) | instid1(VALU_DEP_2)
	v_add_f64 v[15:16], v[17:18], -v[13:14]
	v_add_f64 v[4:5], v[17:18], v[4:5]
	s_delay_alu instid0(VALU_DEP_2) | instskip(SKIP_1) | instid1(VALU_DEP_3)
	v_add_f64 v[17:18], v[17:18], -v[15:16]
	v_add_f64 v[0:1], v[0:1], -v[15:16]
	v_add_f64 v[36:37], v[19:20], v[4:5]
	s_delay_alu instid0(VALU_DEP_3) | instskip(SKIP_2) | instid1(VALU_DEP_2)
	v_add_f64 v[13:14], v[13:14], -v[17:18]
	v_alignbit_b32 v17, v3, v2, 2
	v_lshrrev_b32_e32 v18, 2, v3
	v_mad_u64_u32 v[23:24], null, 0xd2511f53, v17, 0
	s_delay_alu instid0(VALU_DEP_2) | instskip(NEXT) | instid1(VALU_DEP_2)
	v_xor3_b32 v3, v7, v22, v18
	v_xor_b32_e32 v6, v24, v8
	s_delay_alu instid0(VALU_DEP_2) | instskip(SKIP_2) | instid1(VALU_DEP_4)
	v_mad_u64_u32 v[24:25], null, 0xd2511f53, v3, 0
	v_add_f64 v[15:16], v[36:37], -v[19:20]
	v_add_f64 v[0:1], v[0:1], v[13:14]
	v_xor_b32_e32 v20, v6, v12
	v_add_co_u32 v19, null, 0xbb67ae85, v10
	s_delay_alu instid0(VALU_DEP_4) | instskip(NEXT) | instid1(VALU_DEP_3)
	v_add_f64 v[3:4], v[4:5], -v[15:16]
	v_mad_u64_u32 v[5:6], null, 0xcd9e8d57, v20, 0
	s_delay_alu instid0(VALU_DEP_3) | instskip(SKIP_3) | instid1(VALU_DEP_4)
	v_xor3_b32 v15, v19, v25, v23
	v_add_co_u32 v20, null, 0x9e3779b9, v7
	v_and_b32_e32 v25, 3, v2
	v_add_co_u32 v22, null, 0x76cf5d0a, v10
	v_mad_u64_u32 v[13:14], null, 0xcd9e8d57, v15, 0
	s_delay_alu instid0(VALU_DEP_4) | instskip(SKIP_2) | instid1(VALU_DEP_3)
	v_xor3_b32 v6, v20, v6, v21
	v_add_co_u32 v21, null, 0x3c6ef372, v7
	v_add_co_u32 v23, null, 0x32370b8f, v10
	v_mad_u64_u32 v[15:16], null, 0xd2511f53, v6, 0
	s_delay_alu instid0(VALU_DEP_3) | instskip(SKIP_2) | instid1(VALU_DEP_3)
	v_xor3_b32 v14, v21, v14, v5
	v_add_co_u32 v28, null, 0xed9eba14, v10
	v_add_co_u32 v34, null, 0x646e171e, v10
	v_mad_u64_u32 v[5:6], null, 0xd2511f53, v14, 0
	v_xor3_b32 v14, v22, v16, v24
	v_add_co_u32 v24, null, 0xdaa66d2b, v7
	v_add_co_u32 v35, null, 0x1fd5c5a3, v10
	s_delay_alu instid0(VALU_DEP_3) | instskip(SKIP_1) | instid1(VALU_DEP_1)
	v_mad_u64_u32 v[30:31], null, 0xcd9e8d57, v14, 0
	v_xor3_b32 v6, v23, v6, v15
	v_mad_u64_u32 v[14:15], null, 0xcd9e8d57, v6, 0
	v_add_f64 v[0:1], v[0:1], v[3:4]
	s_delay_alu instid0(VALU_DEP_4) | instskip(SKIP_1) | instid1(VALU_DEP_2)
	v_xor3_b32 v6, v24, v31, v13
	v_add_co_u32 v31, null, 0x5384540f, v7
	v_mad_u64_u32 v[2:3], null, 0xd2511f53, v6, 0
	v_xor3_b32 v6, v26, v15, v30
	v_add_co_u32 v30, null, 0xa9066899, v10
	s_delay_alu instid0(VALU_DEP_3) | instskip(NEXT) | instid1(VALU_DEP_3)
	v_xor3_b32 v13, v28, v3, v5
	v_mad_u64_u32 v[3:4], null, 0xd2511f53, v6, 0
	s_delay_alu instid0(VALU_DEP_2) | instskip(NEXT) | instid1(VALU_DEP_2)
	v_mad_u64_u32 v[5:6], null, 0xcd9e8d57, v13, 0
	v_xor3_b32 v2, v30, v4, v2
	s_delay_alu instid0(VALU_DEP_2) | instskip(NEXT) | instid1(VALU_DEP_2)
	v_xor3_b32 v4, v32, v6, v14
	v_mad_u64_u32 v[13:14], null, 0xcd9e8d57, v2, 0
	s_delay_alu instid0(VALU_DEP_2) | instskip(NEXT) | instid1(VALU_DEP_2)
	v_mad_u64_u32 v[15:16], null, 0xd2511f53, v4, 0
	v_xor3_b32 v4, v33, v14, v5
	v_add_f64 v[0:1], v[36:37], v[0:1]
	v_add_co_u32 v37, null, 0xdb3d7428, v10
	s_delay_alu instid0(VALU_DEP_4) | instskip(NEXT) | instid1(VALU_DEP_4)
	v_xor3_b32 v6, v34, v16, v3
	v_mad_u64_u32 v[2:3], null, 0xd2511f53, v4, 0
	v_add_co_u32 v36, null, 0xf1bbcdc8, v7
	s_delay_alu instid0(VALU_DEP_3) | instskip(NEXT) | instid1(VALU_DEP_3)
	v_mad_u64_u32 v[4:5], null, 0xcd9e8d57, v6, 0
	v_xor3_b32 v3, v35, v3, v15
	s_delay_alu instid0(VALU_DEP_2) | instskip(NEXT) | instid1(VALU_DEP_2)
	v_xor3_b32 v5, v31, v5, v13
	v_mad_u64_u32 v[13:14], null, 0xcd9e8d57, v3, 0
	s_delay_alu instid0(VALU_DEP_2) | instskip(NEXT) | instid1(VALU_DEP_2)
	v_mad_u64_u32 v[15:16], null, 0xd2511f53, v5, 0
	v_xor3_b32 v3, v36, v14, v4
	s_delay_alu instid0(VALU_DEP_2) | instskip(NEXT) | instid1(VALU_DEP_2)
	v_xor3_b32 v2, v37, v16, v2
	v_mad_u64_u32 v[39:40], null, 0xd2511f53, v3, 0
	v_add_nc_u32_e32 v29, 0x96a522ad, v8
	s_delay_alu instid0(VALU_DEP_3) | instskip(NEXT) | instid1(VALU_DEP_3)
	v_mad_u64_u32 v[4:5], null, 0xcd9e8d57, v2, 0
	v_mov_b32_e32 v6, v39
	v_cndmask_b32_e64 v1, v1, s51, s44
	v_cndmask_b32_e64 v0, v0, s14, s44
	s_and_b32 s51, s45, 28
	s_delay_alu instid0(VALU_DEP_4)
	v_xor3_b32 v3, v5, v13, v27
	v_xor3_b32 v5, v40, v15, v29
	v_cndmask_b32_e32 v1, 0x7ff80000, v1, vcc_lo
	v_cmp_nge_f64_e64 vcc_lo, s[14:15], 1.0
	s_cmp_lg_u32 s49, 0
	v_mov_b32_e32 v39, v12
	s_cselect_b32 s52, -1, 0
	v_cndmask_b32_e32 v13, 0, v0, vcc_lo
	v_cmp_neq_f64_e64 vcc_lo, s[14:15], 1.0
	v_cndmask_b32_e32 v14, 0xfff00000, v1, vcc_lo
	s_branch .LBB23_9
.LBB23_7:                               ;   in Loop: Header=BB23_9 Depth=1
	v_cvt_f32_u32_e32 v4, v4
	s_mov_b32 s35, s19
	s_delay_alu instid0(VALU_DEP_1) | instskip(NEXT) | instid1(VALU_DEP_1)
	v_fmaak_f32 v6, 0x2f800000, v4, 0x2f800000
	v_cvt_f64_f32_e32 v[4:5], v6
	s_delay_alu instid0(VALU_DEP_1) | instskip(NEXT) | instid1(VALU_DEP_1)
	v_frexp_mant_f64_e32 v[40:41], v[4:5]
	v_cmp_gt_f64_e32 vcc_lo, s[18:19], v[40:41]
	v_cndmask_b32_e64 v10, 0x3ff00000, 2.0, vcc_lo
	s_delay_alu instid0(VALU_DEP_1) | instskip(SKIP_1) | instid1(VALU_DEP_2)
	v_mul_f64 v[40:41], v[40:41], v[9:10]
	v_frexp_exp_i32_f64_e32 v10, v[4:5]
	v_add_f64 v[42:43], v[40:41], 1.0
	v_add_f64 v[48:49], v[40:41], -1.0
	s_delay_alu instid0(VALU_DEP_3) | instskip(SKIP_1) | instid1(VALU_DEP_4)
	v_subrev_co_ci_u32_e32 v10, vcc_lo, 0, v10, vcc_lo
	v_cmp_eq_f32_e32 vcc_lo, 0x7f800000, v6
	v_rcp_f64_e32 v[44:45], v[42:43]
	v_add_f64 v[50:51], v[42:43], -1.0
	s_delay_alu instid0(VALU_DEP_1) | instskip(SKIP_2) | instid1(VALU_DEP_1)
	v_add_f64 v[40:41], v[40:41], -v[50:51]
	s_waitcnt_depctr 0xfff
	v_fma_f64 v[46:47], -v[42:43], v[44:45], 1.0
	v_fma_f64 v[44:45], v[46:47], v[44:45], v[44:45]
	s_delay_alu instid0(VALU_DEP_1) | instskip(NEXT) | instid1(VALU_DEP_1)
	v_fma_f64 v[46:47], -v[42:43], v[44:45], 1.0
	v_fma_f64 v[44:45], v[46:47], v[44:45], v[44:45]
	s_delay_alu instid0(VALU_DEP_1) | instskip(NEXT) | instid1(VALU_DEP_1)
	v_mul_f64 v[46:47], v[48:49], v[44:45]
	v_mul_f64 v[52:53], v[42:43], v[46:47]
	s_delay_alu instid0(VALU_DEP_1) | instskip(NEXT) | instid1(VALU_DEP_1)
	v_fma_f64 v[42:43], v[46:47], v[42:43], -v[52:53]
	v_fma_f64 v[40:41], v[46:47], v[40:41], v[42:43]
	s_delay_alu instid0(VALU_DEP_1) | instskip(NEXT) | instid1(VALU_DEP_1)
	v_add_f64 v[42:43], v[52:53], v[40:41]
	v_add_f64 v[50:51], v[48:49], -v[42:43]
	v_add_f64 v[52:53], v[42:43], -v[52:53]
	s_delay_alu instid0(VALU_DEP_2) | instskip(NEXT) | instid1(VALU_DEP_2)
	v_add_f64 v[48:49], v[48:49], -v[50:51]
	v_add_f64 v[40:41], v[52:53], -v[40:41]
	s_delay_alu instid0(VALU_DEP_2) | instskip(NEXT) | instid1(VALU_DEP_1)
	v_add_f64 v[42:43], v[48:49], -v[42:43]
	v_add_f64 v[40:41], v[40:41], v[42:43]
	s_delay_alu instid0(VALU_DEP_1) | instskip(NEXT) | instid1(VALU_DEP_1)
	v_add_f64 v[40:41], v[50:51], v[40:41]
	v_mul_f64 v[40:41], v[44:45], v[40:41]
	s_delay_alu instid0(VALU_DEP_1) | instskip(NEXT) | instid1(VALU_DEP_1)
	v_add_f64 v[42:43], v[46:47], v[40:41]
	v_mul_f64 v[44:45], v[42:43], v[42:43]
	s_delay_alu instid0(VALU_DEP_1) | instskip(SKIP_1) | instid1(VALU_DEP_2)
	v_fma_f64 v[48:49], v[44:45], s[22:23], s[20:21]
	v_mul_f64 v[50:51], v[42:43], v[44:45]
	v_fma_f64 v[48:49], v[44:45], v[48:49], s[24:25]
	s_delay_alu instid0(VALU_DEP_1) | instskip(NEXT) | instid1(VALU_DEP_1)
	v_fma_f64 v[48:49], v[44:45], v[48:49], s[26:27]
	v_fma_f64 v[48:49], v[44:45], v[48:49], s[28:29]
	s_delay_alu instid0(VALU_DEP_1) | instskip(NEXT) | instid1(VALU_DEP_1)
	v_fma_f64 v[48:49], v[44:45], v[48:49], s[30:31]
	v_fma_f64 v[44:45], v[44:45], v[48:49], s[34:35]
	v_ldexp_f64 v[48:49], v[42:43], 1
	v_add_f64 v[42:43], v[42:43], -v[46:47]
	s_delay_alu instid0(VALU_DEP_3) | instskip(SKIP_1) | instid1(VALU_DEP_3)
	v_mul_f64 v[44:45], v[50:51], v[44:45]
	v_cvt_f64_i32_e32 v[50:51], v10
	v_add_f64 v[40:41], v[40:41], -v[42:43]
	s_delay_alu instid0(VALU_DEP_3) | instskip(NEXT) | instid1(VALU_DEP_3)
	v_add_f64 v[46:47], v[48:49], v[44:45]
	v_mul_f64 v[52:53], v[50:51], s[36:37]
	s_delay_alu instid0(VALU_DEP_3) | instskip(NEXT) | instid1(VALU_DEP_3)
	v_ldexp_f64 v[40:41], v[40:41], 1
	v_add_f64 v[42:43], v[46:47], -v[48:49]
	s_delay_alu instid0(VALU_DEP_3) | instskip(NEXT) | instid1(VALU_DEP_2)
	v_fma_f64 v[48:49], v[50:51], s[36:37], -v[52:53]
	v_add_f64 v[42:43], v[44:45], -v[42:43]
	s_delay_alu instid0(VALU_DEP_2) | instskip(NEXT) | instid1(VALU_DEP_2)
	v_fma_f64 v[44:45], v[50:51], s[38:39], v[48:49]
	v_add_f64 v[40:41], v[40:41], v[42:43]
	s_delay_alu instid0(VALU_DEP_2) | instskip(NEXT) | instid1(VALU_DEP_2)
	v_add_f64 v[42:43], v[52:53], v[44:45]
	v_add_f64 v[48:49], v[46:47], v[40:41]
	s_delay_alu instid0(VALU_DEP_2) | instskip(NEXT) | instid1(VALU_DEP_2)
	v_add_f64 v[52:53], v[42:43], -v[52:53]
	v_add_f64 v[50:51], v[42:43], v[48:49]
	v_add_f64 v[46:47], v[48:49], -v[46:47]
	s_delay_alu instid0(VALU_DEP_3) | instskip(NEXT) | instid1(VALU_DEP_3)
	v_add_f64 v[44:45], v[44:45], -v[52:53]
	v_add_f64 v[54:55], v[50:51], -v[42:43]
	s_delay_alu instid0(VALU_DEP_3) | instskip(NEXT) | instid1(VALU_DEP_2)
	v_add_f64 v[40:41], v[40:41], -v[46:47]
	v_add_f64 v[56:57], v[50:51], -v[54:55]
	;; [unrolled: 1-line block ×3, first 2 shown]
	s_delay_alu instid0(VALU_DEP_3) | instskip(NEXT) | instid1(VALU_DEP_3)
	v_add_f64 v[48:49], v[44:45], v[40:41]
	v_add_f64 v[42:43], v[42:43], -v[56:57]
	s_delay_alu instid0(VALU_DEP_1) | instskip(NEXT) | instid1(VALU_DEP_3)
	v_add_f64 v[42:43], v[46:47], v[42:43]
	v_add_f64 v[46:47], v[48:49], -v[44:45]
	s_delay_alu instid0(VALU_DEP_2) | instskip(NEXT) | instid1(VALU_DEP_2)
	v_add_f64 v[42:43], v[48:49], v[42:43]
	v_add_f64 v[48:49], v[48:49], -v[46:47]
	v_add_f64 v[40:41], v[40:41], -v[46:47]
	s_delay_alu instid0(VALU_DEP_3) | instskip(NEXT) | instid1(VALU_DEP_3)
	v_add_f64 v[52:53], v[50:51], v[42:43]
	v_add_f64 v[44:45], v[44:45], -v[48:49]
	s_delay_alu instid0(VALU_DEP_2) | instskip(NEXT) | instid1(VALU_DEP_2)
	v_add_f64 v[46:47], v[52:53], -v[50:51]
	v_add_f64 v[40:41], v[40:41], v[44:45]
	s_delay_alu instid0(VALU_DEP_2) | instskip(NEXT) | instid1(VALU_DEP_1)
	v_add_f64 v[42:43], v[42:43], -v[46:47]
	v_add_f64 v[40:41], v[40:41], v[42:43]
	s_delay_alu instid0(VALU_DEP_1) | instskip(NEXT) | instid1(VALU_DEP_1)
	v_add_f64 v[40:41], v[52:53], v[40:41]
	v_dual_cndmask_b32 v5, v41, v5 :: v_dual_cndmask_b32 v4, v40, v4
	v_cmp_neq_f32_e32 vcc_lo, 0, v6
	s_delay_alu instid0(VALU_DEP_2) | instskip(NEXT) | instid1(VALU_DEP_3)
	v_cndmask_b32_e32 v5, 0xfff00000, v5, vcc_lo
	v_cndmask_b32_e32 v4, 0, v4, vcc_lo
	s_delay_alu instid0(VALU_DEP_1) | instskip(NEXT) | instid1(VALU_DEP_1)
	v_div_scale_f64 v[40:41], null, v[13:14], v[13:14], v[4:5]
	v_rcp_f64_e32 v[42:43], v[40:41]
	s_waitcnt_depctr 0xfff
	v_fma_f64 v[44:45], -v[40:41], v[42:43], 1.0
	s_delay_alu instid0(VALU_DEP_1) | instskip(NEXT) | instid1(VALU_DEP_1)
	v_fma_f64 v[42:43], v[42:43], v[44:45], v[42:43]
	v_fma_f64 v[44:45], -v[40:41], v[42:43], 1.0
	s_delay_alu instid0(VALU_DEP_1) | instskip(SKIP_1) | instid1(VALU_DEP_1)
	v_fma_f64 v[42:43], v[42:43], v[44:45], v[42:43]
	v_div_scale_f64 v[44:45], vcc_lo, v[4:5], v[13:14], v[4:5]
	v_mul_f64 v[46:47], v[44:45], v[42:43]
	s_delay_alu instid0(VALU_DEP_1) | instskip(NEXT) | instid1(VALU_DEP_1)
	v_fma_f64 v[40:41], -v[40:41], v[46:47], v[44:45]
	v_div_fmas_f64 v[40:41], v[40:41], v[42:43], v[46:47]
	s_delay_alu instid0(VALU_DEP_1) | instskip(NEXT) | instid1(VALU_DEP_1)
	v_div_fixup_f64 v[4:5], v[40:41], v[13:14], v[4:5]
	v_ceil_f64_e32 v[4:5], v[4:5]
	global_store_b64 v3, v[4:5], s[12:13]
.LBB23_8:                               ;   in Loop: Header=BB23_9 Depth=1
	s_or_b32 exec_lo, exec_lo, s53
	v_add_co_u32 v11, vcc_lo, v11, s46
	v_add_co_ci_u32_e32 v12, vcc_lo, 0, v12, vcc_lo
	v_mov_b32_e32 v3, v15
	s_waitcnt_vscnt null, 0x0
	s_barrier
	s_delay_alu instid0(VALU_DEP_2)
	v_cmp_le_i64_e32 vcc_lo, s[2:3], v[11:12]
	buffer_gl0_inv
	v_mov_b32_e32 v6, v3
	v_dual_mov_b32 v5, v2 :: v_dual_mov_b32 v4, v1
	v_mov_b32_e32 v3, v0
	s_or_b32 s47, vcc_lo, s47
	s_delay_alu instid0(SALU_CYCLE_1)
	s_and_not1_b32 exec_lo, exec_lo, s47
	s_cbranch_execz .LBB23_48
.LBB23_9:                               ; =>This Loop Header: Depth=1
                                        ;     Child Loop BB23_24 Depth 2
                                        ;     Child Loop BB23_29 Depth 2
	;; [unrolled: 1-line block ×4, first 2 shown]
	v_add_co_u32 v17, vcc_lo, v17, 1
	s_delay_alu instid0(VALU_DEP_1) | instskip(SKIP_2) | instid1(VALU_DEP_1)
	v_cndmask_b32_e64 v0, 0, 1, vcc_lo
	v_add_co_ci_u32_e32 v18, vcc_lo, 0, v18, vcc_lo
	s_mov_b32 s14, exec_lo
	v_cmp_eq_u32_e32 vcc_lo, 0, v18
	s_delay_alu instid0(VALU_DEP_3) | instskip(NEXT) | instid1(VALU_DEP_1)
	v_cndmask_b32_e32 v0, 0, v0, vcc_lo
	v_add_nc_u32_e32 v38, v0, v38
	s_delay_alu instid0(VALU_DEP_1) | instskip(SKIP_2) | instid1(VALU_DEP_2)
	v_cmp_eq_u32_e32 vcc_lo, 0, v38
	v_mad_u64_u32 v[15:16], null, 0xcd9e8d57, v38, 0
	v_cndmask_b32_e32 v0, 0, v0, vcc_lo
	v_xor3_b32 v16, v16, v7, v18
	s_delay_alu instid0(VALU_DEP_2) | instskip(SKIP_1) | instid1(VALU_DEP_3)
	v_add_nc_u32_e32 v39, v0, v39
	v_mad_u64_u32 v[0:1], null, 0xd2511f53, v17, 0
	v_mad_u64_u32 v[40:41], null, 0xd2511f53, v16, 0
	s_delay_alu instid0(VALU_DEP_2) | instskip(NEXT) | instid1(VALU_DEP_2)
	v_xor_b32_e32 v1, v1, v8
	v_xor3_b32 v0, v19, v41, v0
	s_delay_alu instid0(VALU_DEP_2) | instskip(NEXT) | instid1(VALU_DEP_2)
	v_xor_b32_e32 v10, v39, v1
	v_mad_u64_u32 v[41:42], null, 0xcd9e8d57, v0, 0
	s_delay_alu instid0(VALU_DEP_2) | instskip(NEXT) | instid1(VALU_DEP_1)
	v_mad_u64_u32 v[1:2], null, 0xcd9e8d57, v10, 0
	v_xor3_b32 v2, v20, v2, v15
	s_delay_alu instid0(VALU_DEP_2) | instskip(NEXT) | instid1(VALU_DEP_2)
	v_xor3_b32 v10, v21, v42, v1
	v_mad_u64_u32 v[15:16], null, 0xd2511f53, v2, 0
	s_delay_alu instid0(VALU_DEP_2) | instskip(NEXT) | instid1(VALU_DEP_2)
	v_mad_u64_u32 v[42:43], null, 0xd2511f53, v10, 0
	v_xor3_b32 v2, v22, v16, v40
	s_delay_alu instid0(VALU_DEP_2) | instskip(NEXT) | instid1(VALU_DEP_2)
	v_xor3_b32 v40, v23, v43, v15
	v_mad_u64_u32 v[0:1], null, 0xcd9e8d57, v2, 0
	s_delay_alu instid0(VALU_DEP_2) | instskip(NEXT) | instid1(VALU_DEP_2)
	v_mad_u64_u32 v[15:16], null, 0xcd9e8d57, v40, 0
	v_xor3_b32 v10, v24, v1, v41
	s_delay_alu instid0(VALU_DEP_2) | instskip(NEXT) | instid1(VALU_DEP_2)
	v_xor3_b32 v0, v26, v16, v0
	v_mad_u64_u32 v[1:2], null, 0xd2511f53, v10, 0
	s_delay_alu instid0(VALU_DEP_1) | instskip(NEXT) | instid1(VALU_DEP_3)
	v_xor3_b32 v2, v28, v2, v42
	v_mad_u64_u32 v[42:43], null, 0xd2511f53, v0, 0
	s_delay_alu instid0(VALU_DEP_2) | instskip(NEXT) | instid1(VALU_DEP_2)
	v_mad_u64_u32 v[40:41], null, 0xcd9e8d57, v2, 0
	v_xor3_b32 v10, v30, v43, v1
	s_delay_alu instid0(VALU_DEP_2) | instskip(NEXT) | instid1(VALU_DEP_2)
	v_xor3_b32 v2, v32, v41, v15
	v_mad_u64_u32 v[15:16], null, 0xcd9e8d57, v10, 0
	s_delay_alu instid0(VALU_DEP_2) | instskip(NEXT) | instid1(VALU_DEP_2)
	v_mad_u64_u32 v[0:1], null, 0xd2511f53, v2, 0
	v_xor3_b32 v16, v33, v16, v40
	s_delay_alu instid0(VALU_DEP_2) | instskip(NEXT) | instid1(VALU_DEP_2)
	;; [unrolled: 6-line block ×4, first 2 shown]
	v_xor3_b32 v0, v37, v42, v40
	v_mad_u64_u32 v[15:16], null, 0xd2511f53, v10, 0
	s_delay_alu instid0(VALU_DEP_2) | instskip(NEXT) | instid1(VALU_DEP_1)
	v_mad_u64_u32 v[1:2], null, 0xcd9e8d57, v0, 0
	v_xor3_b32 v0, v2, v43, v27
	s_delay_alu instid0(VALU_DEP_3)
	v_xor3_b32 v2, v16, v41, v29
	v_cmpx_lt_i32_e32 1, v25
	s_xor_b32 s14, exec_lo, s14
	s_cbranch_execnz .LBB23_12
; %bb.10:                               ;   in Loop: Header=BB23_9 Depth=1
	s_and_not1_saveexec_b32 s14, s14
	s_cbranch_execnz .LBB23_17
.LBB23_11:                              ;   in Loop: Header=BB23_9 Depth=1
	s_or_b32 exec_lo, exec_lo, s14
	s_delay_alu instid0(SALU_CYCLE_1)
	s_mov_b32 s53, exec_lo
	v_cmpx_gt_i64_e64 s[16:17], v[11:12]
	s_cbranch_execnz .LBB23_20
	s_branch .LBB23_34
.LBB23_12:                              ;   in Loop: Header=BB23_9 Depth=1
	s_mov_b32 s15, exec_lo
	v_cmpx_lt_i32_e32 2, v25
	s_xor_b32 s15, exec_lo, s15
; %bb.13:                               ;   in Loop: Header=BB23_9 Depth=1
	v_dual_mov_b32 v3, v6 :: v_dual_mov_b32 v4, v0
; %bb.14:                               ;   in Loop: Header=BB23_9 Depth=1
	s_and_not1_saveexec_b32 s15, s15
; %bb.15:                               ;   in Loop: Header=BB23_9 Depth=1
	v_dual_mov_b32 v3, v5 :: v_dual_mov_b32 v4, v6
; %bb.16:                               ;   in Loop: Header=BB23_9 Depth=1
	s_or_b32 exec_lo, exec_lo, s15
	s_and_not1_saveexec_b32 s14, s14
	s_cbranch_execz .LBB23_11
.LBB23_17:                              ;   in Loop: Header=BB23_9 Depth=1
	s_mov_b32 s15, exec_lo
	v_cmpx_eq_u32_e32 1, v25
; %bb.18:                               ;   in Loop: Header=BB23_9 Depth=1
	v_dual_mov_b32 v3, v4 :: v_dual_mov_b32 v4, v5
; %bb.19:                               ;   in Loop: Header=BB23_9 Depth=1
	s_or_b32 exec_lo, exec_lo, s15
	s_delay_alu instid0(SALU_CYCLE_1) | instskip(NEXT) | instid1(SALU_CYCLE_1)
	s_or_b32 exec_lo, exec_lo, s14
	s_mov_b32 s53, exec_lo
	v_cmpx_gt_i64_e64 s[16:17], v[11:12]
	s_cbranch_execz .LBB23_34
.LBB23_20:                              ;   in Loop: Header=BB23_9 Depth=1
	s_and_not1_b32 vcc_lo, exec_lo, s11
	s_cbranch_vccnz .LBB23_26
; %bb.21:                               ;   in Loop: Header=BB23_9 Depth=1
	v_mov_b32_e32 v5, 0
	s_and_not1_b32 vcc_lo, exec_lo, s48
	s_cbranch_vccnz .LBB23_30
; %bb.22:                               ;   in Loop: Header=BB23_9 Depth=1
	s_and_not1_b32 vcc_lo, exec_lo, s50
	s_mov_b32 s14, 0
	s_cbranch_vccnz .LBB23_27
; %bb.23:                               ;   in Loop: Header=BB23_9 Depth=1
	v_dual_mov_b32 v5, 0 :: v_dual_mov_b32 v6, v11
	s_mov_b32 s35, 0
	s_mov_b64 s[14:15], s[42:43]
	s_mov_b64 s[44:45], s[0:1]
.LBB23_24:                              ;   Parent Loop BB23_9 Depth=1
                                        ; =>  This Inner Loop Header: Depth=2
	s_clause 0x1
	s_load_b256 s[56:63], s[14:15], 0x4
	s_load_b128 s[64:67], s[14:15], 0x24
	s_load_b128 s[68:71], s[44:45], 0x0
	s_add_u32 s14, s14, 48
	s_addc_u32 s15, s15, 0
	s_add_i32 s35, s35, 4
	s_add_u32 s44, s44, 16
	s_addc_u32 s45, s45, 0
	s_cmp_lg_u32 s51, s35
	s_waitcnt lgkmcnt(0)
	v_mul_hi_u32 v10, s57, v6
	s_delay_alu instid0(VALU_DEP_1) | instskip(NEXT) | instid1(VALU_DEP_1)
	v_add_nc_u32_e32 v10, v6, v10
	v_lshrrev_b32_e32 v10, s58, v10
	s_delay_alu instid0(VALU_DEP_1) | instskip(SKIP_1) | instid1(VALU_DEP_2)
	v_mul_hi_u32 v16, s60, v10
	v_mul_lo_u32 v42, v10, s56
	v_add_nc_u32_e32 v16, v10, v16
	s_delay_alu instid0(VALU_DEP_2) | instskip(NEXT) | instid1(VALU_DEP_2)
	v_sub_nc_u32_e32 v42, v6, v42
	v_lshrrev_b32_e32 v16, s61, v16
	s_delay_alu instid0(VALU_DEP_2) | instskip(NEXT) | instid1(VALU_DEP_2)
	v_mul_lo_u32 v42, v42, s68
	v_mul_hi_u32 v40, s63, v16
	v_mul_lo_u32 v43, v16, s59
	s_delay_alu instid0(VALU_DEP_2) | instskip(NEXT) | instid1(VALU_DEP_2)
	v_add_nc_u32_e32 v40, v16, v40
	v_sub_nc_u32_e32 v10, v10, v43
	s_delay_alu instid0(VALU_DEP_2) | instskip(NEXT) | instid1(VALU_DEP_2)
	v_lshrrev_b32_e32 v40, s64, v40
	v_mul_lo_u32 v10, v10, s69
	s_delay_alu instid0(VALU_DEP_2) | instskip(NEXT) | instid1(VALU_DEP_2)
	v_mul_hi_u32 v41, s66, v40
	v_add3_u32 v5, v42, v5, v10
	s_delay_alu instid0(VALU_DEP_2) | instskip(NEXT) | instid1(VALU_DEP_1)
	v_add_nc_u32_e32 v41, v40, v41
	v_lshrrev_b32_e32 v6, s67, v41
	v_mul_lo_u32 v41, v40, s62
	s_delay_alu instid0(VALU_DEP_2) | instskip(NEXT) | instid1(VALU_DEP_2)
	v_mul_lo_u32 v44, v6, s65
	v_sub_nc_u32_e32 v16, v16, v41
	s_delay_alu instid0(VALU_DEP_2) | instskip(NEXT) | instid1(VALU_DEP_2)
	v_sub_nc_u32_e32 v40, v40, v44
	v_mul_lo_u32 v16, v16, s70
	s_delay_alu instid0(VALU_DEP_2) | instskip(NEXT) | instid1(VALU_DEP_1)
	v_mul_lo_u32 v40, v40, s71
	v_add3_u32 v5, v16, v5, v40
	s_cbranch_scc1 .LBB23_24
; %bb.25:                               ;   in Loop: Header=BB23_9 Depth=1
	s_mov_b32 s14, s51
	s_and_not1_b32 vcc_lo, exec_lo, s52
	s_cbranch_vccz .LBB23_28
	s_branch .LBB23_30
.LBB23_26:                              ;   in Loop: Header=BB23_9 Depth=1
                                        ; implicit-def: $vgpr5
	s_branch .LBB23_31
.LBB23_27:                              ;   in Loop: Header=BB23_9 Depth=1
	v_mov_b32_e32 v6, v11
	s_and_not1_b32 vcc_lo, exec_lo, s52
	s_cbranch_vccnz .LBB23_30
.LBB23_28:                              ;   in Loop: Header=BB23_9 Depth=1
	s_lshl_b32 s15, s14, 2
	s_mul_i32 s35, s14, 12
	s_add_u32 s14, s0, s15
	s_addc_u32 s15, s1, 0
	s_add_u32 s44, s42, s35
	s_addc_u32 s45, s43, 0
	s_mov_b32 s35, s49
	.p2align	6
.LBB23_29:                              ;   Parent Loop BB23_9 Depth=1
                                        ; =>  This Inner Loop Header: Depth=2
	s_clause 0x1
	s_load_b64 s[54:55], s[44:45], 0x4
	s_load_b32 s56, s[44:45], 0xc
	s_add_u32 s44, s44, 12
	s_addc_u32 s45, s45, 0
	s_waitcnt lgkmcnt(0)
	v_mul_hi_u32 v10, s55, v6
	s_load_b32 s55, s[14:15], 0x0
	s_add_u32 s14, s14, 4
	s_addc_u32 s15, s15, 0
	s_add_i32 s35, s35, -1
	s_delay_alu instid0(SALU_CYCLE_1) | instskip(NEXT) | instid1(VALU_DEP_1)
	s_cmp_lg_u32 s35, 0
	v_add_nc_u32_e32 v10, v6, v10
	s_delay_alu instid0(VALU_DEP_1) | instskip(NEXT) | instid1(VALU_DEP_1)
	v_lshrrev_b32_e32 v10, s56, v10
	v_mul_lo_u32 v16, v10, s54
	s_delay_alu instid0(VALU_DEP_1) | instskip(SKIP_1) | instid1(VALU_DEP_1)
	v_sub_nc_u32_e32 v6, v6, v16
	s_waitcnt lgkmcnt(0)
	v_mad_u64_u32 v[40:41], null, v6, s55, v[5:6]
	s_delay_alu instid0(VALU_DEP_1)
	v_dual_mov_b32 v6, v10 :: v_dual_mov_b32 v5, v40
	s_cbranch_scc1 .LBB23_29
.LBB23_30:                              ;   in Loop: Header=BB23_9 Depth=1
	s_cbranch_execnz .LBB23_33
.LBB23_31:                              ;   in Loop: Header=BB23_9 Depth=1
	v_mul_hi_u32 v5, v11, s6
	s_and_not1_b32 vcc_lo, exec_lo, s4
	s_delay_alu instid0(VALU_DEP_1) | instskip(NEXT) | instid1(VALU_DEP_1)
	v_add_nc_u32_e32 v5, v5, v11
	v_lshrrev_b32_e32 v6, s7, v5
	s_delay_alu instid0(VALU_DEP_1) | instskip(NEXT) | instid1(VALU_DEP_1)
	v_mul_lo_u32 v5, v6, s5
	v_sub_nc_u32_e32 v5, v11, v5
	s_delay_alu instid0(VALU_DEP_1)
	v_mul_lo_u32 v5, v5, s40
	s_cbranch_vccnz .LBB23_33
; %bb.32:                               ;   in Loop: Header=BB23_9 Depth=1
	v_mul_hi_u32 v10, s9, v6
	s_delay_alu instid0(VALU_DEP_1) | instskip(NEXT) | instid1(VALU_DEP_1)
	v_add_nc_u32_e32 v10, v6, v10
	v_lshrrev_b32_e32 v10, s10, v10
	s_delay_alu instid0(VALU_DEP_1) | instskip(NEXT) | instid1(VALU_DEP_1)
	v_mul_lo_u32 v10, v10, s8
	v_sub_nc_u32_e32 v6, v6, v10
	s_delay_alu instid0(VALU_DEP_1) | instskip(NEXT) | instid1(VALU_DEP_1)
	v_mad_u64_u32 v[40:41], null, v6, s41, v[5:6]
	v_mov_b32_e32 v5, v40
.LBB23_33:                              ;   in Loop: Header=BB23_9 Depth=1
	v_cvt_f32_u32_e32 v3, v3
	s_mov_b32 s35, s19
	s_delay_alu instid0(VALU_DEP_1) | instskip(NEXT) | instid1(VALU_DEP_1)
	v_fmaak_f32 v3, 0x2f800000, v3, 0x2f800000
	v_cvt_f64_f32_e32 v[40:41], v3
	s_delay_alu instid0(VALU_DEP_1) | instskip(SKIP_1) | instid1(VALU_DEP_2)
	v_frexp_mant_f64_e32 v[42:43], v[40:41]
	v_frexp_exp_i32_f64_e32 v6, v[40:41]
	v_cmp_gt_f64_e32 vcc_lo, s[18:19], v[42:43]
	v_cndmask_b32_e64 v10, 0x3ff00000, 2.0, vcc_lo
	s_delay_alu instid0(VALU_DEP_3) | instskip(SKIP_1) | instid1(VALU_DEP_3)
	v_subrev_co_ci_u32_e32 v6, vcc_lo, 0, v6, vcc_lo
	v_cmp_eq_f32_e32 vcc_lo, 0x7f800000, v3
	v_mul_f64 v[42:43], v[42:43], v[9:10]
	s_delay_alu instid0(VALU_DEP_1) | instskip(SKIP_1) | instid1(VALU_DEP_2)
	v_add_f64 v[44:45], v[42:43], 1.0
	v_add_f64 v[50:51], v[42:43], -1.0
	v_rcp_f64_e32 v[46:47], v[44:45]
	v_add_f64 v[52:53], v[44:45], -1.0
	s_delay_alu instid0(VALU_DEP_1) | instskip(SKIP_2) | instid1(VALU_DEP_1)
	v_add_f64 v[42:43], v[42:43], -v[52:53]
	s_waitcnt_depctr 0xfff
	v_fma_f64 v[48:49], -v[44:45], v[46:47], 1.0
	v_fma_f64 v[46:47], v[48:49], v[46:47], v[46:47]
	s_delay_alu instid0(VALU_DEP_1) | instskip(NEXT) | instid1(VALU_DEP_1)
	v_fma_f64 v[48:49], -v[44:45], v[46:47], 1.0
	v_fma_f64 v[46:47], v[48:49], v[46:47], v[46:47]
	s_delay_alu instid0(VALU_DEP_1) | instskip(NEXT) | instid1(VALU_DEP_1)
	v_mul_f64 v[48:49], v[50:51], v[46:47]
	v_mul_f64 v[54:55], v[44:45], v[48:49]
	s_delay_alu instid0(VALU_DEP_1) | instskip(NEXT) | instid1(VALU_DEP_1)
	v_fma_f64 v[44:45], v[48:49], v[44:45], -v[54:55]
	v_fma_f64 v[42:43], v[48:49], v[42:43], v[44:45]
	s_delay_alu instid0(VALU_DEP_1) | instskip(NEXT) | instid1(VALU_DEP_1)
	v_add_f64 v[44:45], v[54:55], v[42:43]
	v_add_f64 v[52:53], v[50:51], -v[44:45]
	v_add_f64 v[54:55], v[44:45], -v[54:55]
	s_delay_alu instid0(VALU_DEP_2) | instskip(NEXT) | instid1(VALU_DEP_2)
	v_add_f64 v[50:51], v[50:51], -v[52:53]
	v_add_f64 v[42:43], v[54:55], -v[42:43]
	s_delay_alu instid0(VALU_DEP_2) | instskip(NEXT) | instid1(VALU_DEP_1)
	v_add_f64 v[44:45], v[50:51], -v[44:45]
	v_add_f64 v[42:43], v[42:43], v[44:45]
	s_delay_alu instid0(VALU_DEP_1) | instskip(NEXT) | instid1(VALU_DEP_1)
	v_add_f64 v[42:43], v[52:53], v[42:43]
	v_mul_f64 v[42:43], v[46:47], v[42:43]
	s_delay_alu instid0(VALU_DEP_1) | instskip(NEXT) | instid1(VALU_DEP_1)
	v_add_f64 v[44:45], v[48:49], v[42:43]
	v_mul_f64 v[46:47], v[44:45], v[44:45]
	s_delay_alu instid0(VALU_DEP_1) | instskip(SKIP_1) | instid1(VALU_DEP_2)
	v_fma_f64 v[50:51], v[46:47], s[22:23], s[20:21]
	v_mul_f64 v[52:53], v[44:45], v[46:47]
	v_fma_f64 v[50:51], v[46:47], v[50:51], s[24:25]
	s_delay_alu instid0(VALU_DEP_1) | instskip(NEXT) | instid1(VALU_DEP_1)
	v_fma_f64 v[50:51], v[46:47], v[50:51], s[26:27]
	v_fma_f64 v[50:51], v[46:47], v[50:51], s[28:29]
	s_delay_alu instid0(VALU_DEP_1) | instskip(NEXT) | instid1(VALU_DEP_1)
	v_fma_f64 v[50:51], v[46:47], v[50:51], s[30:31]
	v_fma_f64 v[46:47], v[46:47], v[50:51], s[34:35]
	v_ldexp_f64 v[50:51], v[44:45], 1
	v_add_f64 v[44:45], v[44:45], -v[48:49]
	s_delay_alu instid0(VALU_DEP_3) | instskip(SKIP_1) | instid1(VALU_DEP_3)
	v_mul_f64 v[46:47], v[52:53], v[46:47]
	v_cvt_f64_i32_e32 v[52:53], v6
	v_add_f64 v[42:43], v[42:43], -v[44:45]
	s_delay_alu instid0(VALU_DEP_3) | instskip(NEXT) | instid1(VALU_DEP_3)
	v_add_f64 v[48:49], v[50:51], v[46:47]
	v_mul_f64 v[54:55], v[52:53], s[36:37]
	s_delay_alu instid0(VALU_DEP_3) | instskip(NEXT) | instid1(VALU_DEP_3)
	v_ldexp_f64 v[42:43], v[42:43], 1
	v_add_f64 v[44:45], v[48:49], -v[50:51]
	s_delay_alu instid0(VALU_DEP_3) | instskip(NEXT) | instid1(VALU_DEP_2)
	v_fma_f64 v[50:51], v[52:53], s[36:37], -v[54:55]
	v_add_f64 v[44:45], v[46:47], -v[44:45]
	s_delay_alu instid0(VALU_DEP_2) | instskip(NEXT) | instid1(VALU_DEP_2)
	v_fma_f64 v[46:47], v[52:53], s[38:39], v[50:51]
	v_add_f64 v[42:43], v[42:43], v[44:45]
	s_delay_alu instid0(VALU_DEP_2) | instskip(NEXT) | instid1(VALU_DEP_2)
	v_add_f64 v[44:45], v[54:55], v[46:47]
	v_add_f64 v[50:51], v[48:49], v[42:43]
	s_delay_alu instid0(VALU_DEP_2) | instskip(NEXT) | instid1(VALU_DEP_2)
	v_add_f64 v[54:55], v[44:45], -v[54:55]
	v_add_f64 v[52:53], v[44:45], v[50:51]
	v_add_f64 v[48:49], v[50:51], -v[48:49]
	s_delay_alu instid0(VALU_DEP_3) | instskip(NEXT) | instid1(VALU_DEP_3)
	v_add_f64 v[46:47], v[46:47], -v[54:55]
	v_add_f64 v[56:57], v[52:53], -v[44:45]
	s_delay_alu instid0(VALU_DEP_3) | instskip(NEXT) | instid1(VALU_DEP_2)
	v_add_f64 v[42:43], v[42:43], -v[48:49]
	v_add_f64 v[58:59], v[52:53], -v[56:57]
	v_add_f64 v[48:49], v[50:51], -v[56:57]
	s_delay_alu instid0(VALU_DEP_3) | instskip(NEXT) | instid1(VALU_DEP_3)
	v_add_f64 v[50:51], v[46:47], v[42:43]
	v_add_f64 v[44:45], v[44:45], -v[58:59]
	s_delay_alu instid0(VALU_DEP_1) | instskip(NEXT) | instid1(VALU_DEP_3)
	v_add_f64 v[44:45], v[48:49], v[44:45]
	v_add_f64 v[48:49], v[50:51], -v[46:47]
	s_delay_alu instid0(VALU_DEP_2) | instskip(NEXT) | instid1(VALU_DEP_2)
	v_add_f64 v[44:45], v[50:51], v[44:45]
	v_add_f64 v[50:51], v[50:51], -v[48:49]
	v_add_f64 v[42:43], v[42:43], -v[48:49]
	s_delay_alu instid0(VALU_DEP_3) | instskip(NEXT) | instid1(VALU_DEP_3)
	v_add_f64 v[54:55], v[52:53], v[44:45]
	v_add_f64 v[46:47], v[46:47], -v[50:51]
	s_delay_alu instid0(VALU_DEP_2) | instskip(NEXT) | instid1(VALU_DEP_2)
	v_add_f64 v[48:49], v[54:55], -v[52:53]
	v_add_f64 v[42:43], v[42:43], v[46:47]
	s_delay_alu instid0(VALU_DEP_2) | instskip(NEXT) | instid1(VALU_DEP_1)
	v_add_f64 v[44:45], v[44:45], -v[48:49]
	v_add_f64 v[42:43], v[42:43], v[44:45]
	s_delay_alu instid0(VALU_DEP_1) | instskip(NEXT) | instid1(VALU_DEP_1)
	v_add_f64 v[42:43], v[54:55], v[42:43]
	v_cndmask_b32_e32 v6, v42, v40, vcc_lo
	s_delay_alu instid0(VALU_DEP_2) | instskip(SKIP_1) | instid1(VALU_DEP_2)
	v_cndmask_b32_e32 v10, v43, v41, vcc_lo
	v_cmp_neq_f32_e32 vcc_lo, 0, v3
	v_cndmask_b32_e32 v41, 0xfff00000, v10, vcc_lo
	s_delay_alu instid0(VALU_DEP_4) | instskip(NEXT) | instid1(VALU_DEP_1)
	v_cndmask_b32_e32 v40, 0, v6, vcc_lo
	v_div_scale_f64 v[42:43], null, v[13:14], v[13:14], v[40:41]
	s_delay_alu instid0(VALU_DEP_1) | instskip(SKIP_2) | instid1(VALU_DEP_1)
	v_rcp_f64_e32 v[44:45], v[42:43]
	s_waitcnt_depctr 0xfff
	v_fma_f64 v[46:47], -v[42:43], v[44:45], 1.0
	v_fma_f64 v[44:45], v[44:45], v[46:47], v[44:45]
	s_delay_alu instid0(VALU_DEP_1) | instskip(NEXT) | instid1(VALU_DEP_1)
	v_fma_f64 v[46:47], -v[42:43], v[44:45], 1.0
	v_fma_f64 v[44:45], v[44:45], v[46:47], v[44:45]
	v_div_scale_f64 v[46:47], vcc_lo, v[40:41], v[13:14], v[40:41]
	s_delay_alu instid0(VALU_DEP_1) | instskip(NEXT) | instid1(VALU_DEP_1)
	v_mul_f64 v[48:49], v[46:47], v[44:45]
	v_fma_f64 v[42:43], -v[42:43], v[48:49], v[46:47]
	s_delay_alu instid0(VALU_DEP_1) | instskip(NEXT) | instid1(VALU_DEP_1)
	v_div_fmas_f64 v[42:43], v[42:43], v[44:45], v[48:49]
	v_div_fixup_f64 v[40:41], v[42:43], v[13:14], v[40:41]
	s_delay_alu instid0(VALU_DEP_1)
	v_ceil_f64_e32 v[40:41], v[40:41]
	global_store_b64 v5, v[40:41], s[12:13]
.LBB23_34:                              ;   in Loop: Header=BB23_9 Depth=1
	s_or_b32 exec_lo, exec_lo, s53
	v_add_co_u32 v5, vcc_lo, v11, s33
	v_add_co_ci_u32_e32 v6, vcc_lo, 0, v12, vcc_lo
	s_mov_b32 s53, exec_lo
	s_delay_alu instid0(VALU_DEP_1)
	v_cmpx_gt_i64_e64 s[16:17], v[5:6]
	s_cbranch_execz .LBB23_8
; %bb.35:                               ;   in Loop: Header=BB23_9 Depth=1
	s_and_not1_b32 vcc_lo, exec_lo, s11
	s_cbranch_vccnz .LBB23_41
; %bb.36:                               ;   in Loop: Header=BB23_9 Depth=1
	v_mov_b32_e32 v3, 0
	s_and_not1_b32 vcc_lo, exec_lo, s48
	s_cbranch_vccnz .LBB23_45
; %bb.37:                               ;   in Loop: Header=BB23_9 Depth=1
	s_and_not1_b32 vcc_lo, exec_lo, s50
	s_mov_b32 s14, 0
	s_cbranch_vccnz .LBB23_42
; %bb.38:                               ;   in Loop: Header=BB23_9 Depth=1
	v_dual_mov_b32 v3, 0 :: v_dual_mov_b32 v6, v5
	s_mov_b32 s35, 0
	s_mov_b64 s[14:15], s[42:43]
	s_mov_b64 s[44:45], s[0:1]
.LBB23_39:                              ;   Parent Loop BB23_9 Depth=1
                                        ; =>  This Inner Loop Header: Depth=2
	s_clause 0x1
	s_load_b256 s[56:63], s[14:15], 0x4
	s_load_b128 s[64:67], s[14:15], 0x24
	s_load_b128 s[68:71], s[44:45], 0x0
	s_add_u32 s14, s14, 48
	s_addc_u32 s15, s15, 0
	s_add_i32 s35, s35, 4
	s_add_u32 s44, s44, 16
	s_addc_u32 s45, s45, 0
	s_cmp_eq_u32 s51, s35
	s_waitcnt lgkmcnt(0)
	v_mul_hi_u32 v10, s57, v6
	s_delay_alu instid0(VALU_DEP_1) | instskip(NEXT) | instid1(VALU_DEP_1)
	v_add_nc_u32_e32 v10, v6, v10
	v_lshrrev_b32_e32 v10, s58, v10
	s_delay_alu instid0(VALU_DEP_1) | instskip(SKIP_1) | instid1(VALU_DEP_2)
	v_mul_hi_u32 v16, s60, v10
	v_mul_lo_u32 v42, v10, s56
	v_add_nc_u32_e32 v16, v10, v16
	s_delay_alu instid0(VALU_DEP_2) | instskip(NEXT) | instid1(VALU_DEP_2)
	v_sub_nc_u32_e32 v42, v6, v42
	v_lshrrev_b32_e32 v16, s61, v16
	s_delay_alu instid0(VALU_DEP_2) | instskip(NEXT) | instid1(VALU_DEP_2)
	v_mul_lo_u32 v42, v42, s68
	v_mul_hi_u32 v40, s63, v16
	v_mul_lo_u32 v43, v16, s59
	s_delay_alu instid0(VALU_DEP_2) | instskip(NEXT) | instid1(VALU_DEP_2)
	v_add_nc_u32_e32 v40, v16, v40
	v_sub_nc_u32_e32 v10, v10, v43
	s_delay_alu instid0(VALU_DEP_2) | instskip(NEXT) | instid1(VALU_DEP_2)
	v_lshrrev_b32_e32 v40, s64, v40
	v_mul_lo_u32 v10, v10, s69
	s_delay_alu instid0(VALU_DEP_2) | instskip(NEXT) | instid1(VALU_DEP_2)
	v_mul_hi_u32 v41, s66, v40
	v_add3_u32 v3, v42, v3, v10
	s_delay_alu instid0(VALU_DEP_2) | instskip(NEXT) | instid1(VALU_DEP_1)
	v_add_nc_u32_e32 v41, v40, v41
	v_lshrrev_b32_e32 v6, s67, v41
	v_mul_lo_u32 v41, v40, s62
	s_delay_alu instid0(VALU_DEP_2) | instskip(NEXT) | instid1(VALU_DEP_2)
	v_mul_lo_u32 v44, v6, s65
	v_sub_nc_u32_e32 v16, v16, v41
	s_delay_alu instid0(VALU_DEP_2) | instskip(NEXT) | instid1(VALU_DEP_2)
	v_sub_nc_u32_e32 v40, v40, v44
	v_mul_lo_u32 v16, v16, s70
	s_delay_alu instid0(VALU_DEP_2) | instskip(NEXT) | instid1(VALU_DEP_1)
	v_mul_lo_u32 v40, v40, s71
	v_add3_u32 v3, v16, v3, v40
	s_cbranch_scc0 .LBB23_39
; %bb.40:                               ;   in Loop: Header=BB23_9 Depth=1
	s_mov_b32 s14, s51
	s_and_not1_b32 vcc_lo, exec_lo, s52
	s_cbranch_vccz .LBB23_43
	s_branch .LBB23_45
.LBB23_41:                              ;   in Loop: Header=BB23_9 Depth=1
                                        ; implicit-def: $vgpr3
	s_branch .LBB23_46
.LBB23_42:                              ;   in Loop: Header=BB23_9 Depth=1
	v_mov_b32_e32 v6, v5
	s_and_not1_b32 vcc_lo, exec_lo, s52
	s_cbranch_vccnz .LBB23_45
.LBB23_43:                              ;   in Loop: Header=BB23_9 Depth=1
	s_lshl_b32 s15, s14, 2
	s_mul_i32 s35, s14, 12
	s_add_u32 s14, s0, s15
	s_addc_u32 s15, s1, 0
	s_add_u32 s44, s42, s35
	s_addc_u32 s45, s43, 0
	s_mov_b32 s35, s49
	.p2align	6
.LBB23_44:                              ;   Parent Loop BB23_9 Depth=1
                                        ; =>  This Inner Loop Header: Depth=2
	s_clause 0x1
	s_load_b64 s[54:55], s[44:45], 0x4
	s_load_b32 s56, s[44:45], 0xc
	s_add_u32 s44, s44, 12
	s_addc_u32 s45, s45, 0
	s_waitcnt lgkmcnt(0)
	v_mul_hi_u32 v10, s55, v6
	s_load_b32 s55, s[14:15], 0x0
	s_add_u32 s14, s14, 4
	s_addc_u32 s15, s15, 0
	s_add_i32 s35, s35, -1
	s_delay_alu instid0(SALU_CYCLE_1) | instskip(NEXT) | instid1(VALU_DEP_1)
	s_cmp_lg_u32 s35, 0
	v_add_nc_u32_e32 v10, v6, v10
	s_delay_alu instid0(VALU_DEP_1) | instskip(NEXT) | instid1(VALU_DEP_1)
	v_lshrrev_b32_e32 v10, s56, v10
	v_mul_lo_u32 v16, v10, s54
	s_delay_alu instid0(VALU_DEP_1) | instskip(SKIP_1) | instid1(VALU_DEP_1)
	v_sub_nc_u32_e32 v6, v6, v16
	s_waitcnt lgkmcnt(0)
	v_mad_u64_u32 v[40:41], null, v6, s55, v[3:4]
	s_delay_alu instid0(VALU_DEP_1)
	v_dual_mov_b32 v6, v10 :: v_dual_mov_b32 v3, v40
	s_cbranch_scc1 .LBB23_44
.LBB23_45:                              ;   in Loop: Header=BB23_9 Depth=1
	s_cbranch_execnz .LBB23_7
.LBB23_46:                              ;   in Loop: Header=BB23_9 Depth=1
	v_mul_hi_u32 v3, v5, s6
	s_and_not1_b32 vcc_lo, exec_lo, s4
	s_delay_alu instid0(VALU_DEP_1) | instskip(NEXT) | instid1(VALU_DEP_1)
	v_add_nc_u32_e32 v3, v3, v5
	v_lshrrev_b32_e32 v6, s7, v3
	s_delay_alu instid0(VALU_DEP_1) | instskip(NEXT) | instid1(VALU_DEP_1)
	v_mul_lo_u32 v3, v6, s5
	v_sub_nc_u32_e32 v3, v5, v3
	s_delay_alu instid0(VALU_DEP_1)
	v_mul_lo_u32 v3, v3, s40
	s_cbranch_vccnz .LBB23_7
; %bb.47:                               ;   in Loop: Header=BB23_9 Depth=1
	v_mul_hi_u32 v5, s9, v6
	s_delay_alu instid0(VALU_DEP_1) | instskip(NEXT) | instid1(VALU_DEP_1)
	v_add_nc_u32_e32 v5, v6, v5
	v_lshrrev_b32_e32 v5, s10, v5
	s_delay_alu instid0(VALU_DEP_1) | instskip(NEXT) | instid1(VALU_DEP_1)
	v_mul_lo_u32 v5, v5, s8
	v_sub_nc_u32_e32 v10, v6, v5
	s_delay_alu instid0(VALU_DEP_1) | instskip(NEXT) | instid1(VALU_DEP_1)
	v_mad_u64_u32 v[5:6], null, v10, s41, v[3:4]
	v_mov_b32_e32 v3, v5
	s_branch .LBB23_7
.LBB23_48:
	s_endpgm
.LBB23_49:
                                        ; implicit-def: $sgpr2_sgpr3
	s_branch .LBB23_4
	.section	.rodata,"a",@progbits
	.p2align	6, 0x0
	.amdhsa_kernel _ZN2at6native12_GLOBAL__N_143distribution_elementwise_grid_stride_kernelIdLi2EZNS0_9templates4cuda21uniform_and_transformIddPNS_17CUDAGeneratorImplEZZZNS4_16geometric_kernelIS7_EEvRNS_18TensorIteratorBaseEdT_ENKUlvE_clEvENKUlvE4_clEvEUldE_EEvSA_T1_T2_EUlP25hiprandStatePhilox4_32_10E0_ZNS1_27distribution_nullary_kernelIdd15HIP_vector_typeIfLj4EES7_SJ_SE_EEvSA_SG_RKT3_T4_EUlidE0_EEvlNS_15PhiloxCudaStateESF_SG_
		.amdhsa_group_segment_fixed_size 0
		.amdhsa_private_segment_fixed_size 0
		.amdhsa_kernarg_size 584
		.amdhsa_user_sgpr_count 15
		.amdhsa_user_sgpr_dispatch_ptr 0
		.amdhsa_user_sgpr_queue_ptr 0
		.amdhsa_user_sgpr_kernarg_segment_ptr 1
		.amdhsa_user_sgpr_dispatch_id 0
		.amdhsa_user_sgpr_private_segment_size 0
		.amdhsa_wavefront_size32 1
		.amdhsa_uses_dynamic_stack 0
		.amdhsa_enable_private_segment 0
		.amdhsa_system_sgpr_workgroup_id_x 1
		.amdhsa_system_sgpr_workgroup_id_y 0
		.amdhsa_system_sgpr_workgroup_id_z 0
		.amdhsa_system_sgpr_workgroup_info 0
		.amdhsa_system_vgpr_workitem_id 0
		.amdhsa_next_free_vgpr 60
		.amdhsa_next_free_sgpr 72
		.amdhsa_reserve_vcc 1
		.amdhsa_float_round_mode_32 0
		.amdhsa_float_round_mode_16_64 0
		.amdhsa_float_denorm_mode_32 3
		.amdhsa_float_denorm_mode_16_64 3
		.amdhsa_dx10_clamp 1
		.amdhsa_ieee_mode 1
		.amdhsa_fp16_overflow 0
		.amdhsa_workgroup_processor_mode 1
		.amdhsa_memory_ordered 1
		.amdhsa_forward_progress 0
		.amdhsa_shared_vgpr_count 0
		.amdhsa_exception_fp_ieee_invalid_op 0
		.amdhsa_exception_fp_denorm_src 0
		.amdhsa_exception_fp_ieee_div_zero 0
		.amdhsa_exception_fp_ieee_overflow 0
		.amdhsa_exception_fp_ieee_underflow 0
		.amdhsa_exception_fp_ieee_inexact 0
		.amdhsa_exception_int_div_zero 0
	.end_amdhsa_kernel
	.section	.text._ZN2at6native12_GLOBAL__N_143distribution_elementwise_grid_stride_kernelIdLi2EZNS0_9templates4cuda21uniform_and_transformIddPNS_17CUDAGeneratorImplEZZZNS4_16geometric_kernelIS7_EEvRNS_18TensorIteratorBaseEdT_ENKUlvE_clEvENKUlvE4_clEvEUldE_EEvSA_T1_T2_EUlP25hiprandStatePhilox4_32_10E0_ZNS1_27distribution_nullary_kernelIdd15HIP_vector_typeIfLj4EES7_SJ_SE_EEvSA_SG_RKT3_T4_EUlidE0_EEvlNS_15PhiloxCudaStateESF_SG_,"axG",@progbits,_ZN2at6native12_GLOBAL__N_143distribution_elementwise_grid_stride_kernelIdLi2EZNS0_9templates4cuda21uniform_and_transformIddPNS_17CUDAGeneratorImplEZZZNS4_16geometric_kernelIS7_EEvRNS_18TensorIteratorBaseEdT_ENKUlvE_clEvENKUlvE4_clEvEUldE_EEvSA_T1_T2_EUlP25hiprandStatePhilox4_32_10E0_ZNS1_27distribution_nullary_kernelIdd15HIP_vector_typeIfLj4EES7_SJ_SE_EEvSA_SG_RKT3_T4_EUlidE0_EEvlNS_15PhiloxCudaStateESF_SG_,comdat
.Lfunc_end23:
	.size	_ZN2at6native12_GLOBAL__N_143distribution_elementwise_grid_stride_kernelIdLi2EZNS0_9templates4cuda21uniform_and_transformIddPNS_17CUDAGeneratorImplEZZZNS4_16geometric_kernelIS7_EEvRNS_18TensorIteratorBaseEdT_ENKUlvE_clEvENKUlvE4_clEvEUldE_EEvSA_T1_T2_EUlP25hiprandStatePhilox4_32_10E0_ZNS1_27distribution_nullary_kernelIdd15HIP_vector_typeIfLj4EES7_SJ_SE_EEvSA_SG_RKT3_T4_EUlidE0_EEvlNS_15PhiloxCudaStateESF_SG_, .Lfunc_end23-_ZN2at6native12_GLOBAL__N_143distribution_elementwise_grid_stride_kernelIdLi2EZNS0_9templates4cuda21uniform_and_transformIddPNS_17CUDAGeneratorImplEZZZNS4_16geometric_kernelIS7_EEvRNS_18TensorIteratorBaseEdT_ENKUlvE_clEvENKUlvE4_clEvEUldE_EEvSA_T1_T2_EUlP25hiprandStatePhilox4_32_10E0_ZNS1_27distribution_nullary_kernelIdd15HIP_vector_typeIfLj4EES7_SJ_SE_EEvSA_SG_RKT3_T4_EUlidE0_EEvlNS_15PhiloxCudaStateESF_SG_
                                        ; -- End function
	.section	.AMDGPU.csdata,"",@progbits
; Kernel info:
; codeLenInByte = 6816
; NumSgprs: 74
; NumVgprs: 60
; ScratchSize: 0
; MemoryBound: 0
; FloatMode: 240
; IeeeMode: 1
; LDSByteSize: 0 bytes/workgroup (compile time only)
; SGPRBlocks: 9
; VGPRBlocks: 7
; NumSGPRsForWavesPerEU: 74
; NumVGPRsForWavesPerEU: 60
; Occupancy: 16
; WaveLimiterHint : 1
; COMPUTE_PGM_RSRC2:SCRATCH_EN: 0
; COMPUTE_PGM_RSRC2:USER_SGPR: 15
; COMPUTE_PGM_RSRC2:TRAP_HANDLER: 0
; COMPUTE_PGM_RSRC2:TGID_X_EN: 1
; COMPUTE_PGM_RSRC2:TGID_Y_EN: 0
; COMPUTE_PGM_RSRC2:TGID_Z_EN: 0
; COMPUTE_PGM_RSRC2:TIDIG_COMP_CNT: 0
	.section	.text._ZN2at6native12_GLOBAL__N_143distribution_elementwise_grid_stride_kernelIfLi4EZNS0_9templates4cuda21uniform_and_transformIffPNS_17CUDAGeneratorImplEZZZNS4_16geometric_kernelIS7_EEvRNS_18TensorIteratorBaseEdT_ENKUlvE_clEvENKUlvE5_clEvEUlfE_EEvSA_T1_T2_EUlP25hiprandStatePhilox4_32_10E_ZNS1_27distribution_nullary_kernelIff15HIP_vector_typeIdLj2EES7_SJ_SE_EEvSA_SG_RKT3_T4_EUlifE_EEvlNS_15PhiloxCudaStateESF_SG_,"axG",@progbits,_ZN2at6native12_GLOBAL__N_143distribution_elementwise_grid_stride_kernelIfLi4EZNS0_9templates4cuda21uniform_and_transformIffPNS_17CUDAGeneratorImplEZZZNS4_16geometric_kernelIS7_EEvRNS_18TensorIteratorBaseEdT_ENKUlvE_clEvENKUlvE5_clEvEUlfE_EEvSA_T1_T2_EUlP25hiprandStatePhilox4_32_10E_ZNS1_27distribution_nullary_kernelIff15HIP_vector_typeIdLj2EES7_SJ_SE_EEvSA_SG_RKT3_T4_EUlifE_EEvlNS_15PhiloxCudaStateESF_SG_,comdat
	.globl	_ZN2at6native12_GLOBAL__N_143distribution_elementwise_grid_stride_kernelIfLi4EZNS0_9templates4cuda21uniform_and_transformIffPNS_17CUDAGeneratorImplEZZZNS4_16geometric_kernelIS7_EEvRNS_18TensorIteratorBaseEdT_ENKUlvE_clEvENKUlvE5_clEvEUlfE_EEvSA_T1_T2_EUlP25hiprandStatePhilox4_32_10E_ZNS1_27distribution_nullary_kernelIff15HIP_vector_typeIdLj2EES7_SJ_SE_EEvSA_SG_RKT3_T4_EUlifE_EEvlNS_15PhiloxCudaStateESF_SG_ ; -- Begin function _ZN2at6native12_GLOBAL__N_143distribution_elementwise_grid_stride_kernelIfLi4EZNS0_9templates4cuda21uniform_and_transformIffPNS_17CUDAGeneratorImplEZZZNS4_16geometric_kernelIS7_EEvRNS_18TensorIteratorBaseEdT_ENKUlvE_clEvENKUlvE5_clEvEUlfE_EEvSA_T1_T2_EUlP25hiprandStatePhilox4_32_10E_ZNS1_27distribution_nullary_kernelIff15HIP_vector_typeIdLj2EES7_SJ_SE_EEvSA_SG_RKT3_T4_EUlifE_EEvlNS_15PhiloxCudaStateESF_SG_
	.p2align	8
	.type	_ZN2at6native12_GLOBAL__N_143distribution_elementwise_grid_stride_kernelIfLi4EZNS0_9templates4cuda21uniform_and_transformIffPNS_17CUDAGeneratorImplEZZZNS4_16geometric_kernelIS7_EEvRNS_18TensorIteratorBaseEdT_ENKUlvE_clEvENKUlvE5_clEvEUlfE_EEvSA_T1_T2_EUlP25hiprandStatePhilox4_32_10E_ZNS1_27distribution_nullary_kernelIff15HIP_vector_typeIdLj2EES7_SJ_SE_EEvSA_SG_RKT3_T4_EUlifE_EEvlNS_15PhiloxCudaStateESF_SG_,@function
_ZN2at6native12_GLOBAL__N_143distribution_elementwise_grid_stride_kernelIfLi4EZNS0_9templates4cuda21uniform_and_transformIffPNS_17CUDAGeneratorImplEZZZNS4_16geometric_kernelIS7_EEvRNS_18TensorIteratorBaseEdT_ENKUlvE_clEvENKUlvE5_clEvEUlfE_EEvSA_T1_T2_EUlP25hiprandStatePhilox4_32_10E_ZNS1_27distribution_nullary_kernelIff15HIP_vector_typeIdLj2EES7_SJ_SE_EEvSA_SG_RKT3_T4_EUlifE_EEvlNS_15PhiloxCudaStateESF_SG_: ; @_ZN2at6native12_GLOBAL__N_143distribution_elementwise_grid_stride_kernelIfLi4EZNS0_9templates4cuda21uniform_and_transformIffPNS_17CUDAGeneratorImplEZZZNS4_16geometric_kernelIS7_EEvRNS_18TensorIteratorBaseEdT_ENKUlvE_clEvENKUlvE5_clEvEUlfE_EEvSA_T1_T2_EUlP25hiprandStatePhilox4_32_10E_ZNS1_27distribution_nullary_kernelIff15HIP_vector_typeIdLj2EES7_SJ_SE_EEvSA_SG_RKT3_T4_EUlifE_EEvlNS_15PhiloxCudaStateESF_SG_
; %bb.0:
	s_clause 0x2
	s_load_b64 s[8:9], s[0:1], 0x10
	s_load_b128 s[4:7], s[0:1], 0x0
	s_load_b32 s2, s[0:1], 0x20
	s_waitcnt lgkmcnt(0)
	v_dual_mov_b32 v2, s8 :: v_dual_mov_b32 v3, s9
	v_dual_mov_b32 v9, s7 :: v_dual_mov_b32 v8, s6
	s_bitcmp0_b32 s2, 0
	s_mov_b32 s2, 0
	s_cbranch_scc1 .LBB24_2
; %bb.1:
	v_dual_mov_b32 v1, s8 :: v_dual_mov_b32 v2, s9
	v_dual_mov_b32 v4, s6 :: v_dual_mov_b32 v5, s7
	s_load_b64 s[6:7], s[0:1], 0x18
	flat_load_b64 v[2:3], v[1:2]
	flat_load_b64 v[8:9], v[4:5]
	s_waitcnt vmcnt(1) lgkmcnt(0)
	v_add_co_u32 v2, vcc_lo, v2, s6
	v_add_co_ci_u32_e32 v3, vcc_lo, s7, v3, vcc_lo
.LBB24_2:
	s_clause 0x1
	s_load_b32 s3, s[0:1], 0x54
	s_load_b32 s11, s[0:1], 0x48
	s_waitcnt lgkmcnt(0)
	s_and_b32 s10, s3, 0xffff
	s_add_u32 s6, s4, -1
	s_mul_i32 s8, s11, s10
	s_addc_u32 s3, s5, -1
	s_lshl_b32 s9, s8, 2
	s_cmp_lg_u64 s[2:3], 0
	s_cbranch_scc0 .LBB24_27
; %bb.3:
	v_cvt_f32_ubyte0_e32 v1, 0
	v_cvt_f32_u32_e32 v4, s9
	s_sub_u32 s12, 0, s9
	s_subb_u32 s13, 0, 0
	s_delay_alu instid0(VALU_DEP_1) | instskip(NEXT) | instid1(VALU_DEP_1)
	v_fmamk_f32 v1, v1, 0x4f800000, v4
	v_rcp_f32_e32 v1, v1
	s_waitcnt_depctr 0xfff
	v_mul_f32_e32 v1, 0x5f7ffffc, v1
	s_delay_alu instid0(VALU_DEP_1) | instskip(NEXT) | instid1(VALU_DEP_1)
	v_mul_f32_e32 v4, 0x2f800000, v1
	v_trunc_f32_e32 v4, v4
	s_delay_alu instid0(VALU_DEP_1) | instskip(SKIP_1) | instid1(VALU_DEP_2)
	v_fmamk_f32 v1, v4, 0xcf800000, v1
	v_cvt_u32_f32_e32 v4, v4
	v_cvt_u32_f32_e32 v1, v1
	s_delay_alu instid0(VALU_DEP_2) | instskip(NEXT) | instid1(VALU_DEP_2)
	v_readfirstlane_b32 s2, v4
	v_readfirstlane_b32 s7, v1
	s_delay_alu instid0(VALU_DEP_2) | instskip(NEXT) | instid1(VALU_DEP_1)
	s_mul_i32 s14, s12, s2
	s_mul_hi_u32 s17, s12, s7
	s_mul_i32 s16, s13, s7
	s_add_i32 s14, s17, s14
	s_mul_i32 s18, s12, s7
	s_add_i32 s14, s14, s16
	s_mul_hi_u32 s17, s7, s18
	s_mul_hi_u32 s19, s2, s18
	s_mul_i32 s16, s2, s18
	s_mul_hi_u32 s18, s7, s14
	s_mul_i32 s7, s7, s14
	s_mul_hi_u32 s20, s2, s14
	s_add_u32 s7, s17, s7
	s_addc_u32 s17, 0, s18
	s_add_u32 s7, s7, s16
	s_mul_i32 s14, s2, s14
	s_addc_u32 s7, s17, s19
	s_addc_u32 s16, s20, 0
	s_add_u32 s7, s7, s14
	s_addc_u32 s14, 0, s16
	v_add_co_u32 v1, s7, v1, s7
	s_delay_alu instid0(VALU_DEP_1) | instskip(SKIP_1) | instid1(VALU_DEP_1)
	s_cmp_lg_u32 s7, 0
	s_addc_u32 s2, s2, s14
	v_readfirstlane_b32 s7, v1
	s_mul_i32 s14, s12, s2
	s_delay_alu instid0(VALU_DEP_1)
	s_mul_hi_u32 s16, s12, s7
	s_mul_i32 s13, s13, s7
	s_add_i32 s14, s16, s14
	s_mul_i32 s12, s12, s7
	s_add_i32 s14, s14, s13
	s_mul_hi_u32 s16, s2, s12
	s_mul_i32 s17, s2, s12
	s_mul_hi_u32 s12, s7, s12
	s_mul_hi_u32 s18, s7, s14
	s_mul_i32 s7, s7, s14
	s_mul_hi_u32 s13, s2, s14
	s_add_u32 s7, s12, s7
	s_addc_u32 s12, 0, s18
	s_add_u32 s7, s7, s17
	s_mul_i32 s14, s2, s14
	s_addc_u32 s7, s12, s16
	s_addc_u32 s12, s13, 0
	s_add_u32 s7, s7, s14
	s_addc_u32 s12, 0, s12
	v_add_co_u32 v1, s7, v1, s7
	s_delay_alu instid0(VALU_DEP_1) | instskip(SKIP_2) | instid1(VALU_DEP_1)
	s_cmp_lg_u32 s7, 0
	s_addc_u32 s7, s2, s12
	s_ashr_i32 s12, s3, 31
	v_readfirstlane_b32 s14, v1
	s_add_u32 s2, s6, s12
	s_mov_b32 s13, s12
	s_addc_u32 s3, s3, s12
	s_delay_alu instid0(SALU_CYCLE_1) | instskip(NEXT) | instid1(SALU_CYCLE_1)
	s_xor_b64 s[2:3], s[2:3], s[12:13]
	s_mul_i32 s17, s2, s7
	s_mul_hi_u32 s18, s2, s14
	s_mul_hi_u32 s16, s2, s7
	;; [unrolled: 1-line block ×3, first 2 shown]
	s_mul_i32 s14, s3, s14
	s_add_u32 s17, s18, s17
	s_addc_u32 s16, 0, s16
	s_mul_hi_u32 s19, s3, s7
	s_add_u32 s14, s17, s14
	s_mul_i32 s7, s3, s7
	s_addc_u32 s14, s16, s20
	s_addc_u32 s16, s19, 0
	s_add_u32 s7, s14, s7
	s_addc_u32 s14, 0, s16
	s_mul_i32 s17, s9, s7
	s_add_u32 s16, s7, 1
	v_sub_co_u32 v1, s2, s2, s17
	s_mul_hi_u32 s17, s9, s7
	s_addc_u32 s18, s14, 0
	s_mul_i32 s19, s9, s14
	s_delay_alu instid0(VALU_DEP_1)
	v_sub_co_u32 v4, s20, v1, s9
	s_add_u32 s21, s7, 2
	s_addc_u32 s22, s14, 0
	s_add_i32 s17, s17, s19
	s_cmp_lg_u32 s2, 0
	v_readfirstlane_b32 s2, v4
	s_subb_u32 s3, s3, s17
	s_cmp_lg_u32 s20, 0
	s_subb_u32 s17, s3, 0
	s_delay_alu instid0(VALU_DEP_1) | instskip(SKIP_4) | instid1(SALU_CYCLE_1)
	s_cmp_ge_u32 s2, s9
	s_cselect_b32 s2, -1, 0
	s_cmp_eq_u32 s17, 0
	v_readfirstlane_b32 s17, v1
	s_cselect_b32 s2, s2, -1
	s_cmp_lg_u32 s2, 0
	s_cselect_b32 s2, s21, s16
	s_cselect_b32 s16, s22, s18
	s_cmp_ge_u32 s17, s9
	s_cselect_b32 s17, -1, 0
	s_cmp_eq_u32 s3, 0
	s_cselect_b32 s3, s17, -1
	s_delay_alu instid0(SALU_CYCLE_1) | instskip(SKIP_2) | instid1(SALU_CYCLE_1)
	s_cmp_lg_u32 s3, 0
	s_cselect_b32 s3, s16, s14
	s_cselect_b32 s2, s2, s7
	s_xor_b64 s[2:3], s[2:3], s[12:13]
	s_delay_alu instid0(SALU_CYCLE_1)
	s_sub_u32 s2, s2, s12
	s_subb_u32 s3, s3, s12
	s_cbranch_execnz .LBB24_5
.LBB24_4:
	v_cvt_f32_u32_e32 v1, s9
	s_sub_i32 s3, 0, s9
	s_delay_alu instid0(VALU_DEP_1) | instskip(SKIP_2) | instid1(VALU_DEP_1)
	v_rcp_iflag_f32_e32 v1, v1
	s_waitcnt_depctr 0xfff
	v_mul_f32_e32 v1, 0x4f7ffffe, v1
	v_cvt_u32_f32_e32 v1, v1
	s_delay_alu instid0(VALU_DEP_1) | instskip(NEXT) | instid1(VALU_DEP_1)
	v_readfirstlane_b32 s2, v1
	s_mul_i32 s3, s3, s2
	s_delay_alu instid0(SALU_CYCLE_1) | instskip(NEXT) | instid1(SALU_CYCLE_1)
	s_mul_hi_u32 s3, s2, s3
	s_add_i32 s2, s2, s3
	s_delay_alu instid0(SALU_CYCLE_1) | instskip(NEXT) | instid1(SALU_CYCLE_1)
	s_mul_hi_u32 s2, s6, s2
	s_mul_i32 s3, s2, s9
	s_delay_alu instid0(SALU_CYCLE_1)
	s_sub_i32 s3, s6, s3
	s_add_i32 s6, s2, 1
	s_sub_i32 s7, s3, s9
	s_cmp_ge_u32 s3, s9
	s_cselect_b32 s2, s6, s2
	s_cselect_b32 s3, s7, s3
	s_add_i32 s6, s2, 1
	s_cmp_ge_u32 s3, s9
	s_mov_b32 s3, 0
	s_cselect_b32 s2, s6, s2
.LBB24_5:
	v_mov_b32_e32 v1, 0
	s_add_u32 s2, s2, 1
	s_addc_u32 s3, s3, 0
	s_mul_hi_u32 s6, s8, s2
	s_mul_i32 s3, s8, s3
	v_mad_u64_u32 v[10:11], null, s10, s15, v[0:1]
	s_mul_hi_u32 s7, s11, s10
	s_add_i32 s3, s6, s3
	s_mul_i32 s7, s7, s2
	s_mul_i32 s2, s8, s2
	s_add_i32 s3, s3, s7
	s_mov_b32 s6, exec_lo
	s_lshl_b64 s[2:3], s[2:3], 2
	s_delay_alu instid0(SALU_CYCLE_1)
	v_cmpx_gt_i64_e64 s[2:3], v[10:11]
	s_cbranch_execz .LBB24_26
; %bb.6:
	s_load_b64 s[6:7], s[0:1], 0x40
	v_alignbit_b32 v21, v3, v2, 2
	v_lshrrev_b32_e32 v22, 2, v3
	s_waitcnt vmcnt(0)
	v_add_co_u32 v20, null, 0x9e3779b9, v8
	v_add_co_u32 v23, null, 0x3c6ef372, v8
	;; [unrolled: 1-line block ×4, first 2 shown]
	s_mul_i32 s13, s11, 3
	s_add_i32 s16, s15, s11
	s_add_i32 s13, s15, s13
	v_add_co_u32 v26, null, 0xf1bbcdc8, v8
	s_lshl_b32 s14, s11, 1
	v_mov_b32_e32 v36, v9
	s_waitcnt lgkmcnt(0)
	v_cvt_f32_f64_e32 v34, s[6:7]
	s_clause 0x1
	s_load_b64 s[6:7], s[0:1], 0x30
	s_load_b32 s12, s[0:1], 0x38
	s_mov_b32 s1, 0x3e9b6dac
	s_mov_b32 s0, 0
	s_delay_alu instid0(SALU_CYCLE_1) | instskip(SKIP_2) | instid1(SALU_CYCLE_1)
	v_log_f32_e32 v35, s0
	s_waitcnt lgkmcnt(0)
	s_mul_i32 s11, s11, s12
	s_mul_i32 s11, s11, s10
	s_delay_alu instid0(SALU_CYCLE_1) | instskip(NEXT) | instid1(VALU_DEP_1)
	s_lshl_b32 s11, s11, 2
	v_sub_f32_e32 v1, 1.0, v34
	v_cmp_gt_f32_e64 s17, 0x33800000, |v34|
	s_delay_alu instid0(VALU_DEP_2) | instskip(NEXT) | instid1(VALU_DEP_1)
	v_cvt_f64_f32_e32 v[4:5], v1
	v_frexp_exp_i32_f64_e32 v4, v[4:5]
	v_frexp_mant_f32_e32 v5, v1
	s_delay_alu instid0(VALU_DEP_1) | instskip(SKIP_1) | instid1(VALU_DEP_1)
	v_cmp_gt_f32_e32 vcc_lo, 0x3f2aaaab, v5
	v_add_f32_e32 v5, -1.0, v1
	v_sub_f32_e32 v7, v5, v1
	v_sub_f32_e64 v5, -v34, v5
	v_subrev_co_ci_u32_e32 v4, vcc_lo, 0, v4, vcc_lo
	v_cmp_eq_f32_e32 vcc_lo, 0xff800000, v34
	s_delay_alu instid0(VALU_DEP_2) | instskip(NEXT) | instid1(VALU_DEP_1)
	v_sub_nc_u32_e32 v6, 0, v4
	v_ldexp_f32 v1, v1, v6
	s_delay_alu instid0(VALU_DEP_1) | instskip(NEXT) | instid1(VALU_DEP_1)
	v_dual_add_f32 v7, 1.0, v7 :: v_dual_add_f32 v12, 1.0, v1
	v_add_f32_e32 v5, v5, v7
	s_delay_alu instid0(VALU_DEP_1) | instskip(NEXT) | instid1(VALU_DEP_3)
	v_ldexp_f32 v5, v5, v6
	v_dual_add_f32 v6, -1.0, v1 :: v_dual_add_f32 v7, -1.0, v12
	s_delay_alu instid0(VALU_DEP_1) | instskip(NEXT) | instid1(VALU_DEP_2)
	v_add_f32_e32 v13, 1.0, v6
	v_sub_f32_e32 v7, v1, v7
	s_delay_alu instid0(VALU_DEP_2) | instskip(NEXT) | instid1(VALU_DEP_1)
	v_sub_f32_e32 v1, v1, v13
	v_add_f32_e32 v1, v5, v1
	s_delay_alu instid0(VALU_DEP_1) | instskip(NEXT) | instid1(VALU_DEP_1)
	v_dual_add_f32 v14, v6, v1 :: v_dual_add_f32 v7, v5, v7
	v_dual_sub_f32 v6, v14, v6 :: v_dual_add_f32 v13, v12, v7
	s_delay_alu instid0(VALU_DEP_1) | instskip(NEXT) | instid1(VALU_DEP_2)
	v_sub_f32_e32 v1, v1, v6
	v_rcp_f32_e32 v5, v13
	v_sub_f32_e32 v12, v13, v12
	s_delay_alu instid0(VALU_DEP_1) | instskip(SKIP_2) | instid1(VALU_DEP_1)
	v_sub_f32_e32 v7, v7, v12
	s_waitcnt_depctr 0xfff
	v_mul_f32_e32 v15, v14, v5
	v_mul_f32_e32 v16, v13, v15
	s_delay_alu instid0(VALU_DEP_1) | instskip(NEXT) | instid1(VALU_DEP_1)
	v_fma_f32 v12, v15, v13, -v16
	v_fmac_f32_e32 v12, v15, v7
	s_delay_alu instid0(VALU_DEP_1) | instskip(NEXT) | instid1(VALU_DEP_1)
	v_add_f32_e32 v17, v16, v12
	v_sub_f32_e32 v18, v14, v17
	v_sub_f32_e32 v6, v17, v16
	s_delay_alu instid0(VALU_DEP_2) | instskip(NEXT) | instid1(VALU_DEP_2)
	v_sub_f32_e32 v14, v14, v18
	v_sub_f32_e32 v6, v6, v12
	s_delay_alu instid0(VALU_DEP_2) | instskip(NEXT) | instid1(VALU_DEP_1)
	v_sub_f32_e32 v14, v14, v17
	v_add_f32_e32 v1, v1, v14
	s_delay_alu instid0(VALU_DEP_1) | instskip(NEXT) | instid1(VALU_DEP_1)
	v_add_f32_e32 v1, v6, v1
	v_add_f32_e32 v6, v18, v1
	s_delay_alu instid0(VALU_DEP_1) | instskip(SKIP_2) | instid1(VALU_DEP_3)
	v_mul_f32_e32 v12, v5, v6
	v_sub_f32_e32 v17, v18, v6
	v_add_co_u32 v18, null, 0x1715609d, v8
	v_mul_f32_e32 v14, v13, v12
	s_delay_alu instid0(VALU_DEP_3) | instskip(SKIP_1) | instid1(VALU_DEP_3)
	v_add_f32_e32 v1, v1, v17
	v_add_co_u32 v17, null, 0x5384540f, v8
	v_fma_f32 v13, v12, v13, -v14
	s_delay_alu instid0(VALU_DEP_1) | instskip(NEXT) | instid1(VALU_DEP_1)
	v_fmac_f32_e32 v13, v12, v7
	v_add_f32_e32 v7, v14, v13
	s_delay_alu instid0(VALU_DEP_1) | instskip(NEXT) | instid1(VALU_DEP_1)
	v_sub_f32_e32 v16, v6, v7
	v_sub_f32_e32 v6, v6, v16
	s_delay_alu instid0(VALU_DEP_1) | instskip(NEXT) | instid1(VALU_DEP_1)
	v_sub_f32_e32 v6, v6, v7
	v_dual_add_f32 v1, v1, v6 :: v_dual_add_f32 v6, v15, v12
	v_sub_f32_e32 v14, v7, v14
	s_delay_alu instid0(VALU_DEP_1) | instskip(NEXT) | instid1(VALU_DEP_1)
	v_dual_sub_f32 v7, v14, v13 :: v_dual_and_b32 v14, 3, v2
	v_add_f32_e32 v1, v7, v1
	s_delay_alu instid0(VALU_DEP_4) | instskip(NEXT) | instid1(VALU_DEP_2)
	v_sub_f32_e32 v7, v6, v15
	v_add_f32_e32 v1, v16, v1
	s_delay_alu instid0(VALU_DEP_2) | instskip(NEXT) | instid1(VALU_DEP_2)
	v_dual_sub_f32 v7, v12, v7 :: v_dual_add_nc_u32 v16, 0x96a522ad, v9
	v_mul_f32_e32 v1, v5, v1
	s_delay_alu instid0(VALU_DEP_1) | instskip(SKIP_1) | instid1(VALU_DEP_2)
	v_add_f32_e32 v5, v7, v1
	v_mad_u64_u32 v[1:2], null, 0xcd9e8d57, v10, 0
	v_add_f32_e32 v7, v6, v5
	v_add_nc_u32_e32 v15, 0x8ff34781, v8
	s_delay_alu instid0(VALU_DEP_3) | instskip(NEXT) | instid1(VALU_DEP_3)
	v_xor3_b32 v2, v8, v2, v22
	v_mul_f32_e32 v12, v7, v7
	v_ldexp_f32 v3, v7, 1
	s_delay_alu instid0(VALU_DEP_2) | instskip(SKIP_2) | instid1(VALU_DEP_2)
	v_fmaak_f32 v13, s1, v12, 0x3ecc95a3
	v_mul_f32_e32 v24, v7, v12
	s_lshl_b32 s1, s8, 1
	v_fmaak_f32 v12, v12, v13, 0x3f2aaada
	v_cvt_f32_i32_e32 v13, v4
	v_sub_f32_e32 v4, v7, v6
	s_delay_alu instid0(VALU_DEP_3) | instskip(NEXT) | instid1(VALU_DEP_3)
	v_mul_f32_e32 v12, v24, v12
	v_mul_f32_e32 v28, 0x3f317218, v13
	v_add_co_u32 v24, null, 0x78dde6e4, v8
	s_delay_alu instid0(VALU_DEP_3) | instskip(SKIP_1) | instid1(VALU_DEP_4)
	v_add_f32_e32 v7, v3, v12
	v_sub_f32_e32 v5, v5, v4
	v_fma_f32 v27, 0x3f317218, v13, -v28
	s_delay_alu instid0(VALU_DEP_3) | instskip(NEXT) | instid1(VALU_DEP_3)
	v_sub_f32_e32 v6, v7, v3
	v_ldexp_f32 v5, v5, 1
	v_mad_u64_u32 v[3:4], null, 0xd2511f53, v21, 0
	s_delay_alu instid0(VALU_DEP_3) | instskip(NEXT) | instid1(VALU_DEP_1)
	v_dual_fmamk_f32 v29, v13, 0xb102e308, v27 :: v_dual_sub_f32 v6, v12, v6
	v_add_f32_e32 v30, v5, v6
	s_delay_alu instid0(VALU_DEP_3) | instskip(NEXT) | instid1(VALU_DEP_3)
	v_xor_b32_e32 v6, v4, v9
	v_add_f32_e32 v31, v28, v29
	v_mad_u64_u32 v[4:5], null, s15, s10, v[0:1]
	s_delay_alu instid0(VALU_DEP_4) | instskip(NEXT) | instid1(VALU_DEP_4)
	v_add_f32_e32 v32, v7, v30
	v_xor_b32_e32 v27, v6, v11
	v_mad_u64_u32 v[5:6], null, 0xd2511f53, v2, 0
	s_add_i32 s15, s15, s14
	s_delay_alu instid0(VALU_DEP_3) | instskip(NEXT) | instid1(VALU_DEP_3)
	v_add_f32_e32 v33, v31, v32
	v_mad_u64_u32 v[12:13], null, 0xcd9e8d57, v27, 0
	v_add_co_u32 v27, null, 0xbb67ae85, v36
	s_delay_alu instid0(VALU_DEP_3) | instskip(NEXT) | instid1(VALU_DEP_2)
	v_sub_f32_e32 v2, v33, v31
	v_xor3_b32 v3, v27, v6, v3
	s_delay_alu instid0(VALU_DEP_4) | instskip(NEXT) | instid1(VALU_DEP_3)
	v_xor3_b32 v13, v20, v13, v1
	v_dual_sub_f32 v6, v33, v2 :: v_dual_sub_f32 v7, v32, v7
	s_delay_alu instid0(VALU_DEP_1) | instskip(SKIP_1) | instid1(VALU_DEP_3)
	v_sub_f32_e32 v30, v30, v7
	v_sub_f32_e32 v28, v31, v28
	;; [unrolled: 1-line block ×3, first 2 shown]
	v_mad_u64_u32 v[6:7], null, 0xd2511f53, v13, 0
	s_delay_alu instid0(VALU_DEP_3) | instskip(SKIP_1) | instid1(VALU_DEP_2)
	v_dual_sub_f32 v29, v29, v28 :: v_dual_sub_f32 v28, v32, v2
	v_mad_u64_u32 v[1:2], null, 0xcd9e8d57, v3, 0
	v_add_f32_e32 v13, v29, v30
	s_delay_alu instid0(VALU_DEP_3) | instskip(SKIP_1) | instid1(VALU_DEP_4)
	v_add_f32_e32 v3, v28, v31
	v_add_co_u32 v28, null, 0x76cf5d0a, v36
	v_xor3_b32 v12, v23, v2, v12
	s_delay_alu instid0(VALU_DEP_4) | instskip(NEXT) | instid1(VALU_DEP_3)
	v_sub_f32_e32 v31, v13, v29
	v_xor3_b32 v5, v28, v7, v5
	v_add_f32_e32 v32, v13, v3
	s_delay_alu instid0(VALU_DEP_4) | instskip(NEXT) | instid1(VALU_DEP_4)
	v_mad_u64_u32 v[2:3], null, 0xd2511f53, v12, 0
	v_sub_f32_e32 v7, v13, v31
	s_delay_alu instid0(VALU_DEP_4) | instskip(SKIP_3) | instid1(VALU_DEP_2)
	v_mad_u64_u32 v[12:13], null, 0xcd9e8d57, v5, 0
	v_sub_f32_e32 v5, v30, v31
	v_mul_f32_e32 v31, 0x3f317217, v35
	v_add_f32_e32 v37, v33, v32
	v_fma_f32 v38, 0x3f317217, v35, -v31
	s_delay_alu instid0(VALU_DEP_2) | instskip(SKIP_1) | instid1(VALU_DEP_3)
	v_sub_f32_e32 v30, v37, v33
	v_xor3_b32 v1, v19, v13, v1
	v_fmac_f32_e32 v38, 0x3377d1cf, v35
	v_sub_f32_e32 v7, v29, v7
	v_add_co_u32 v29, null, 0x32370b8f, v36
	s_delay_alu instid0(VALU_DEP_2) | instskip(SKIP_1) | instid1(VALU_DEP_3)
	v_add_f32_e32 v5, v5, v7
	v_sub_f32_e32 v7, v32, v30
	v_xor3_b32 v3, v29, v3, v6
	v_mad_u64_u32 v[32:33], null, 0xd2511f53, v1, 0
	v_add_co_u32 v30, null, 0xed9eba14, v36
	s_delay_alu instid0(VALU_DEP_4) | instskip(NEXT) | instid1(VALU_DEP_4)
	v_add_f32_e32 v7, v5, v7
	v_mad_u64_u32 v[5:6], null, 0xcd9e8d57, v3, 0
	v_add_f32_e32 v3, v31, v38
	v_add_co_u32 v31, null, 0xa9066899, v36
	s_delay_alu instid0(VALU_DEP_4) | instskip(NEXT) | instid1(VALU_DEP_4)
	v_add_f32_e32 v1, v37, v7
	v_xor3_b32 v6, v24, v6, v12
	v_xor3_b32 v12, v30, v33, v2
	s_delay_alu instid0(VALU_DEP_3) | instskip(SKIP_3) | instid1(VALU_DEP_4)
	v_cndmask_b32_e64 v7, v1, -v34, vcc_lo
	v_cmp_nlt_f32_e32 vcc_lo, 1.0, v34
	v_mov_b32_e32 v33, v10
	v_mad_u64_u32 v[1:2], null, 0xd2511f53, v6, 0
	v_cndmask_b32_e32 v13, 0x7fc00000, v7, vcc_lo
	v_cmp_neq_f32_e32 vcc_lo, 1.0, v34
	v_mad_u64_u32 v[6:7], null, 0xcd9e8d57, v12, 0
	s_delay_alu instid0(VALU_DEP_3) | instskip(SKIP_2) | instid1(VALU_DEP_4)
	v_cndmask_b32_e32 v12, 0xff800000, v13, vcc_lo
	v_cmp_gt_f32_e64 vcc_lo, 0x7f800000, |v35|
	v_xor3_b32 v13, v31, v2, v32
	v_xor3_b32 v5, v18, v7, v5
	s_delay_alu instid0(VALU_DEP_4) | instskip(SKIP_1) | instid1(VALU_DEP_4)
	v_cndmask_b32_e64 v32, v12, -v34, s17
	v_cndmask_b32_e32 v44, v35, v3, vcc_lo
	v_mad_u64_u32 v[2:3], null, 0xcd9e8d57, v13, 0
	s_delay_alu instid0(VALU_DEP_4) | instskip(NEXT) | instid1(VALU_DEP_3)
	v_mad_u64_u32 v[12:13], null, 0xd2511f53, v5, 0
	v_div_scale_f32 v39, null, v32, v32, v44
	v_add_co_u32 v34, null, 0x646e171e, v36
	s_delay_alu instid0(VALU_DEP_4) | instskip(NEXT) | instid1(VALU_DEP_3)
	v_xor3_b32 v3, v25, v3, v6
	v_rcp_f32_e32 v45, v39
	v_add_co_u32 v35, null, 0x1fd5c5a3, v36
	s_delay_alu instid0(VALU_DEP_3) | instskip(NEXT) | instid1(VALU_DEP_3)
	v_xor3_b32 v1, v34, v13, v1
	v_mad_u64_u32 v[5:6], null, 0xd2511f53, v3, 0
	v_div_scale_f32 v3, vcc_lo, v44, v32, v44
	s_delay_alu instid0(VALU_DEP_3) | instskip(SKIP_4) | instid1(VALU_DEP_3)
	v_mad_u64_u32 v[37:38], null, 0xcd9e8d57, v1, 0
	s_waitcnt_depctr 0xfff
	v_fma_f32 v1, -v39, v45, 1.0
	v_add_co_u32 v36, null, 0xdb3d7428, v36
	v_xor3_b32 v12, v35, v6, v12
	v_fmac_f32_e32 v45, v1, v45
	v_mad_u64_u32 v[6:7], null, s13, s10, v[0:1]
	v_xor3_b32 v7, v17, v38, v2
	v_mad_u64_u32 v[40:41], null, s16, s10, v[0:1]
	s_delay_alu instid0(VALU_DEP_4) | instskip(SKIP_1) | instid1(VALU_DEP_4)
	v_mul_f32_e32 v38, v3, v45
	v_mad_u64_u32 v[1:2], null, 0xcd9e8d57, v12, 0
	v_mad_u64_u32 v[12:13], null, 0xd2511f53, v7, 0
	s_delay_alu instid0(VALU_DEP_3) | instskip(SKIP_1) | instid1(VALU_DEP_4)
	v_fma_f32 v7, -v39, v38, v3
	v_mul_lo_u32 v40, s12, v40
	v_mad_u64_u32 v[41:42], null, s15, s10, v[0:1]
	s_delay_alu instid0(VALU_DEP_3) | instskip(SKIP_4) | instid1(VALU_DEP_3)
	v_fmac_f32_e32 v38, v7, v45
	v_xor3_b32 v0, v26, v2, v37
	v_xor3_b32 v2, v36, v13, v5
	v_mul_lo_u32 v37, s12, v4
	s_mul_i32 s10, s8, 3
	v_mad_u64_u32 v[42:43], null, 0xd2511f53, v0, 0
	v_fma_f32 v0, -v39, v38, v3
	v_mad_u64_u32 v[4:5], null, 0xcd9e8d57, v2, 0
	v_mul_lo_u32 v39, s12, v41
	s_delay_alu instid0(VALU_DEP_3)
	v_div_fmas_f32 v0, v0, v45, v38
	v_mul_lo_u32 v38, s12, v6
	v_mov_b32_e32 v6, v42
	v_mov_b32_e32 v42, v11
	v_xor3_b32 v3, v5, v1, v15
	v_div_fixup_f32 v0, v0, v32, v44
	v_xor3_b32 v5, v43, v12, v16
	s_mov_b32 s12, 0
	s_delay_alu instid0(VALU_DEP_2)
	v_ceil_f32_e32 v41, v0
	s_branch .LBB24_8
.LBB24_7:                               ;   in Loop: Header=BB24_8 Depth=1
	s_or_b32 exec_lo, exec_lo, s13
	v_add_co_u32 v10, vcc_lo, v10, s9
	v_add_co_ci_u32_e32 v11, vcc_lo, 0, v11, vcc_lo
	v_mov_b32_e32 v3, v12
	s_add_i32 s12, s12, s11
	s_waitcnt_vscnt null, 0x0
	s_delay_alu instid0(VALU_DEP_2)
	v_cmp_le_i64_e32 vcc_lo, s[2:3], v[10:11]
	s_barrier
	v_mov_b32_e32 v6, v3
	v_dual_mov_b32 v5, v2 :: v_dual_mov_b32 v4, v1
	v_mov_b32_e32 v3, v0
	s_or_b32 s0, vcc_lo, s0
	buffer_gl0_inv
	s_and_not1_b32 exec_lo, exec_lo, s0
	s_cbranch_execz .LBB24_26
.LBB24_8:                               ; =>This Inner Loop Header: Depth=1
	v_add_co_u32 v21, vcc_lo, v21, 1
	s_delay_alu instid0(VALU_DEP_1) | instskip(SKIP_2) | instid1(VALU_DEP_1)
	v_cndmask_b32_e64 v0, 0, 1, vcc_lo
	v_add_co_ci_u32_e32 v22, vcc_lo, 0, v22, vcc_lo
	s_mov_b32 s13, exec_lo
	v_cmp_eq_u32_e32 vcc_lo, 0, v22
	s_delay_alu instid0(VALU_DEP_3) | instskip(NEXT) | instid1(VALU_DEP_1)
	v_cndmask_b32_e32 v0, 0, v0, vcc_lo
	v_add_nc_u32_e32 v33, v0, v33
	s_delay_alu instid0(VALU_DEP_1) | instskip(SKIP_2) | instid1(VALU_DEP_2)
	v_cmp_eq_u32_e32 vcc_lo, 0, v33
	v_cndmask_b32_e32 v0, 0, v0, vcc_lo
	v_mad_u64_u32 v[12:13], null, 0xcd9e8d57, v33, 0
	v_add_nc_u32_e32 v42, v0, v42
	v_mad_u64_u32 v[0:1], null, 0xd2511f53, v21, 0
	s_delay_alu instid0(VALU_DEP_3) | instskip(NEXT) | instid1(VALU_DEP_2)
	v_xor3_b32 v7, v13, v8, v22
	v_xor_b32_e32 v1, v1, v9
	s_delay_alu instid0(VALU_DEP_1) | instskip(NEXT) | instid1(VALU_DEP_3)
	v_xor_b32_e32 v13, v42, v1
	v_mad_u64_u32 v[1:2], null, 0xd2511f53, v7, 0
	s_delay_alu instid0(VALU_DEP_2) | instskip(NEXT) | instid1(VALU_DEP_2)
	v_mad_u64_u32 v[43:44], null, 0xcd9e8d57, v13, 0
	v_xor3_b32 v0, v27, v2, v0
	s_delay_alu instid0(VALU_DEP_2) | instskip(NEXT) | instid1(VALU_DEP_2)
	v_xor3_b32 v2, v20, v44, v12
	v_mad_u64_u32 v[12:13], null, 0xcd9e8d57, v0, 0
	s_delay_alu instid0(VALU_DEP_2) | instskip(NEXT) | instid1(VALU_DEP_2)
	v_mad_u64_u32 v[44:45], null, 0xd2511f53, v2, 0
	v_xor3_b32 v2, v23, v13, v43
	s_delay_alu instid0(VALU_DEP_2) | instskip(NEXT) | instid1(VALU_DEP_2)
	v_xor3_b32 v7, v28, v45, v1
	;; [unrolled: 6-line block ×9, first 2 shown]
	v_mov_b32_e32 v2, v7
	v_cmpx_lt_i32_e32 1, v14
	s_xor_b32 s13, exec_lo, s13
	s_cbranch_execnz .LBB24_18
; %bb.9:                                ;   in Loop: Header=BB24_8 Depth=1
	s_and_not1_saveexec_b32 s13, s13
	s_cbranch_execnz .LBB24_23
.LBB24_10:                              ;   in Loop: Header=BB24_8 Depth=1
	s_or_b32 exec_lo, exec_lo, s13
	s_delay_alu instid0(SALU_CYCLE_1)
	s_mov_b32 s13, exec_lo
	v_cmpx_gt_i64_e64 s[4:5], v[10:11]
	s_cbranch_execz .LBB24_12
.LBB24_11:                              ;   in Loop: Header=BB24_8 Depth=1
	v_lshrrev_b32_e32 v4, 11, v4
	s_delay_alu instid0(VALU_DEP_1) | instskip(SKIP_1) | instid1(VALU_DEP_2)
	v_cvt_f64_u32_e32 v[43:44], v4
	v_cvt_f64_u32_e32 v[3:4], v3
	v_ldexp_f64 v[43:44], v[43:44], 32
	s_delay_alu instid0(VALU_DEP_1) | instskip(NEXT) | instid1(VALU_DEP_1)
	v_add_f64 v[3:4], v[43:44], v[3:4]
	v_fma_f64 v[3:4], 0x3ca00000, v[3:4], 0x3ca00000
	s_delay_alu instid0(VALU_DEP_1) | instskip(NEXT) | instid1(VALU_DEP_1)
	v_cvt_f32_f64_e32 v3, v[3:4]
	v_cmp_gt_f32_e32 vcc_lo, 0x800000, v3
	v_cndmask_b32_e64 v4, 1.0, 0x4f800000, vcc_lo
	s_delay_alu instid0(VALU_DEP_1) | instskip(NEXT) | instid1(VALU_DEP_1)
	v_mul_f32_e32 v3, v3, v4
	v_log_f32_e32 v3, v3
	s_waitcnt_depctr 0xfff
	v_mul_f32_e32 v4, 0x3f317217, v3
	s_delay_alu instid0(VALU_DEP_1) | instskip(NEXT) | instid1(VALU_DEP_1)
	v_fma_f32 v7, 0x3f317217, v3, -v4
	v_fmac_f32_e32 v7, 0x3377d1cf, v3
	s_delay_alu instid0(VALU_DEP_1) | instskip(SKIP_2) | instid1(VALU_DEP_3)
	v_add_f32_e32 v4, v4, v7
	v_cndmask_b32_e64 v7, 0, 0x41b17218, vcc_lo
	v_cmp_gt_f32_e64 vcc_lo, 0x7f800000, |v3|
	v_cndmask_b32_e32 v3, v3, v4, vcc_lo
	s_delay_alu instid0(VALU_DEP_1) | instskip(NEXT) | instid1(VALU_DEP_1)
	v_sub_f32_e32 v3, v3, v7
	v_div_scale_f32 v4, null, v32, v32, v3
	s_delay_alu instid0(VALU_DEP_1) | instskip(SKIP_2) | instid1(VALU_DEP_1)
	v_rcp_f32_e32 v7, v4
	s_waitcnt_depctr 0xfff
	v_fma_f32 v13, -v4, v7, 1.0
	v_fmac_f32_e32 v7, v13, v7
	v_div_scale_f32 v13, vcc_lo, v3, v32, v3
	s_delay_alu instid0(VALU_DEP_1) | instskip(NEXT) | instid1(VALU_DEP_1)
	v_mul_f32_e32 v43, v13, v7
	v_fma_f32 v44, -v4, v43, v13
	s_delay_alu instid0(VALU_DEP_1) | instskip(NEXT) | instid1(VALU_DEP_1)
	v_fmac_f32_e32 v43, v44, v7
	v_fma_f32 v4, -v4, v43, v13
	v_add_nc_u32_e32 v13, s12, v37
	s_delay_alu instid0(VALU_DEP_2) | instskip(NEXT) | instid1(VALU_DEP_2)
	v_div_fmas_f32 v4, v4, v7, v43
	v_ashrrev_i32_e32 v7, 31, v13
	s_delay_alu instid0(VALU_DEP_2) | instskip(SKIP_1) | instid1(VALU_DEP_3)
	v_div_fixup_f32 v43, v4, v32, v3
	v_add_co_u32 v3, vcc_lo, s6, v13
	v_add_co_ci_u32_e32 v4, vcc_lo, s7, v7, vcc_lo
	s_delay_alu instid0(VALU_DEP_3)
	v_ceil_f32_e32 v7, v43
	global_store_b32 v[3:4], v7, off
.LBB24_12:                              ;   in Loop: Header=BB24_8 Depth=1
	s_or_b32 exec_lo, exec_lo, s13
	v_add_co_u32 v3, vcc_lo, s8, v10
	v_add_co_ci_u32_e32 v4, vcc_lo, 0, v11, vcc_lo
	s_mov_b32 s13, exec_lo
	s_delay_alu instid0(VALU_DEP_1)
	v_cmpx_gt_i64_e64 s[4:5], v[3:4]
	s_cbranch_execz .LBB24_14
; %bb.13:                               ;   in Loop: Header=BB24_8 Depth=1
	v_lshrrev_b32_e32 v3, 11, v6
	v_cvt_f64_u32_e32 v[5:6], v5
	s_delay_alu instid0(VALU_DEP_2) | instskip(NEXT) | instid1(VALU_DEP_1)
	v_cvt_f64_u32_e32 v[3:4], v3
	v_ldexp_f64 v[3:4], v[3:4], 32
	s_delay_alu instid0(VALU_DEP_1) | instskip(NEXT) | instid1(VALU_DEP_1)
	v_add_f64 v[3:4], v[3:4], v[5:6]
	v_fma_f64 v[3:4], 0x3ca00000, v[3:4], 0x3ca00000
	s_delay_alu instid0(VALU_DEP_1) | instskip(NEXT) | instid1(VALU_DEP_1)
	v_cvt_f32_f64_e32 v3, v[3:4]
	v_cmp_gt_f32_e32 vcc_lo, 0x800000, v3
	v_cndmask_b32_e64 v4, 1.0, 0x4f800000, vcc_lo
	s_delay_alu instid0(VALU_DEP_1) | instskip(NEXT) | instid1(VALU_DEP_1)
	v_mul_f32_e32 v3, v3, v4
	v_log_f32_e32 v3, v3
	s_waitcnt_depctr 0xfff
	v_mul_f32_e32 v4, 0x3f317217, v3
	s_delay_alu instid0(VALU_DEP_1) | instskip(NEXT) | instid1(VALU_DEP_1)
	v_fma_f32 v5, 0x3f317217, v3, -v4
	v_fmac_f32_e32 v5, 0x3377d1cf, v3
	s_delay_alu instid0(VALU_DEP_1) | instskip(SKIP_2) | instid1(VALU_DEP_3)
	v_add_f32_e32 v4, v4, v5
	v_cndmask_b32_e64 v5, 0, 0x41b17218, vcc_lo
	v_cmp_gt_f32_e64 vcc_lo, 0x7f800000, |v3|
	v_cndmask_b32_e32 v3, v3, v4, vcc_lo
	s_delay_alu instid0(VALU_DEP_1) | instskip(NEXT) | instid1(VALU_DEP_1)
	v_sub_f32_e32 v3, v3, v5
	v_div_scale_f32 v4, null, v32, v32, v3
	s_delay_alu instid0(VALU_DEP_1) | instskip(SKIP_2) | instid1(VALU_DEP_1)
	v_rcp_f32_e32 v5, v4
	s_waitcnt_depctr 0xfff
	v_fma_f32 v6, -v4, v5, 1.0
	v_fmac_f32_e32 v5, v6, v5
	v_div_scale_f32 v6, vcc_lo, v3, v32, v3
	s_delay_alu instid0(VALU_DEP_1) | instskip(NEXT) | instid1(VALU_DEP_1)
	v_mul_f32_e32 v7, v6, v5
	v_fma_f32 v13, -v4, v7, v6
	s_delay_alu instid0(VALU_DEP_1) | instskip(NEXT) | instid1(VALU_DEP_1)
	v_fmac_f32_e32 v7, v13, v5
	v_fma_f32 v4, -v4, v7, v6
	v_add_nc_u32_e32 v6, s12, v40
	s_delay_alu instid0(VALU_DEP_2) | instskip(NEXT) | instid1(VALU_DEP_2)
	v_div_fmas_f32 v4, v4, v5, v7
	v_ashrrev_i32_e32 v5, 31, v6
	s_delay_alu instid0(VALU_DEP_2) | instskip(SKIP_1) | instid1(VALU_DEP_3)
	v_div_fixup_f32 v7, v4, v32, v3
	v_add_co_u32 v3, vcc_lo, s6, v6
	v_add_co_ci_u32_e32 v4, vcc_lo, s7, v5, vcc_lo
	s_delay_alu instid0(VALU_DEP_3)
	v_ceil_f32_e32 v5, v7
	global_store_b32 v[3:4], v5, off
.LBB24_14:                              ;   in Loop: Header=BB24_8 Depth=1
	s_or_b32 exec_lo, exec_lo, s13
	v_add_co_u32 v3, vcc_lo, s1, v10
	v_add_co_ci_u32_e32 v4, vcc_lo, 0, v11, vcc_lo
	s_mov_b32 s13, exec_lo
	s_delay_alu instid0(VALU_DEP_1)
	v_cmpx_gt_i64_e64 s[4:5], v[3:4]
	s_cbranch_execz .LBB24_16
; %bb.15:                               ;   in Loop: Header=BB24_8 Depth=1
	v_add_nc_u32_e32 v3, s12, v39
	s_delay_alu instid0(VALU_DEP_1) | instskip(SKIP_1) | instid1(VALU_DEP_2)
	v_ashrrev_i32_e32 v4, 31, v3
	v_add_co_u32 v3, vcc_lo, s6, v3
	v_add_co_ci_u32_e32 v4, vcc_lo, s7, v4, vcc_lo
	global_store_b32 v[3:4], v41, off
.LBB24_16:                              ;   in Loop: Header=BB24_8 Depth=1
	s_or_b32 exec_lo, exec_lo, s13
	v_add_co_u32 v3, vcc_lo, s10, v10
	v_add_co_ci_u32_e32 v4, vcc_lo, 0, v11, vcc_lo
	s_mov_b32 s13, exec_lo
	s_delay_alu instid0(VALU_DEP_1)
	v_cmpx_gt_i64_e64 s[4:5], v[3:4]
	s_cbranch_execz .LBB24_7
; %bb.17:                               ;   in Loop: Header=BB24_8 Depth=1
	v_add_nc_u32_e32 v3, s12, v38
	s_delay_alu instid0(VALU_DEP_1) | instskip(SKIP_1) | instid1(VALU_DEP_2)
	v_ashrrev_i32_e32 v4, 31, v3
	v_add_co_u32 v3, vcc_lo, s6, v3
	v_add_co_ci_u32_e32 v4, vcc_lo, s7, v4, vcc_lo
	global_store_b32 v[3:4], v41, off
	s_branch .LBB24_7
.LBB24_18:                              ;   in Loop: Header=BB24_8 Depth=1
	s_mov_b32 s14, exec_lo
	v_cmpx_lt_i32_e32 2, v14
	s_xor_b32 s14, exec_lo, s14
; %bb.19:                               ;   in Loop: Header=BB24_8 Depth=1
	v_dual_mov_b32 v4, v6 :: v_dual_mov_b32 v5, v0
	v_mov_b32_e32 v6, v1
	s_delay_alu instid0(VALU_DEP_2) | instskip(NEXT) | instid1(VALU_DEP_3)
	v_mov_b32_e32 v3, v4
	v_mov_b32_e32 v4, v5
	s_delay_alu instid0(VALU_DEP_3)
	v_mov_b32_e32 v5, v6
	v_mov_b32_e32 v6, v7
; %bb.20:                               ;   in Loop: Header=BB24_8 Depth=1
	s_and_not1_saveexec_b32 s14, s14
; %bb.21:                               ;   in Loop: Header=BB24_8 Depth=1
	s_delay_alu instid0(VALU_DEP_1)
	v_dual_mov_b32 v3, v5 :: v_dual_mov_b32 v4, v6
	v_dual_mov_b32 v5, v0 :: v_dual_mov_b32 v6, v1
; %bb.22:                               ;   in Loop: Header=BB24_8 Depth=1
	s_or_b32 exec_lo, exec_lo, s14
	s_and_not1_saveexec_b32 s13, s13
	s_cbranch_execz .LBB24_10
.LBB24_23:                              ;   in Loop: Header=BB24_8 Depth=1
	s_mov_b32 s14, exec_lo
	v_cmpx_eq_u32_e32 1, v14
; %bb.24:                               ;   in Loop: Header=BB24_8 Depth=1
	v_dual_mov_b32 v3, v4 :: v_dual_mov_b32 v4, v5
	v_dual_mov_b32 v5, v6 :: v_dual_mov_b32 v6, v0
; %bb.25:                               ;   in Loop: Header=BB24_8 Depth=1
	s_or_b32 exec_lo, exec_lo, s14
	s_delay_alu instid0(SALU_CYCLE_1) | instskip(NEXT) | instid1(SALU_CYCLE_1)
	s_or_b32 exec_lo, exec_lo, s13
	s_mov_b32 s13, exec_lo
	v_cmpx_gt_i64_e64 s[4:5], v[10:11]
	s_cbranch_execnz .LBB24_11
	s_branch .LBB24_12
.LBB24_26:
	s_endpgm
.LBB24_27:
                                        ; implicit-def: $sgpr2_sgpr3
	s_branch .LBB24_4
	.section	.rodata,"a",@progbits
	.p2align	6, 0x0
	.amdhsa_kernel _ZN2at6native12_GLOBAL__N_143distribution_elementwise_grid_stride_kernelIfLi4EZNS0_9templates4cuda21uniform_and_transformIffPNS_17CUDAGeneratorImplEZZZNS4_16geometric_kernelIS7_EEvRNS_18TensorIteratorBaseEdT_ENKUlvE_clEvENKUlvE5_clEvEUlfE_EEvSA_T1_T2_EUlP25hiprandStatePhilox4_32_10E_ZNS1_27distribution_nullary_kernelIff15HIP_vector_typeIdLj2EES7_SJ_SE_EEvSA_SG_RKT3_T4_EUlifE_EEvlNS_15PhiloxCudaStateESF_SG_
		.amdhsa_group_segment_fixed_size 0
		.amdhsa_private_segment_fixed_size 0
		.amdhsa_kernarg_size 328
		.amdhsa_user_sgpr_count 15
		.amdhsa_user_sgpr_dispatch_ptr 0
		.amdhsa_user_sgpr_queue_ptr 0
		.amdhsa_user_sgpr_kernarg_segment_ptr 1
		.amdhsa_user_sgpr_dispatch_id 0
		.amdhsa_user_sgpr_private_segment_size 0
		.amdhsa_wavefront_size32 1
		.amdhsa_uses_dynamic_stack 0
		.amdhsa_enable_private_segment 0
		.amdhsa_system_sgpr_workgroup_id_x 1
		.amdhsa_system_sgpr_workgroup_id_y 0
		.amdhsa_system_sgpr_workgroup_id_z 0
		.amdhsa_system_sgpr_workgroup_info 0
		.amdhsa_system_vgpr_workitem_id 0
		.amdhsa_next_free_vgpr 48
		.amdhsa_next_free_sgpr 23
		.amdhsa_reserve_vcc 1
		.amdhsa_float_round_mode_32 0
		.amdhsa_float_round_mode_16_64 0
		.amdhsa_float_denorm_mode_32 3
		.amdhsa_float_denorm_mode_16_64 3
		.amdhsa_dx10_clamp 1
		.amdhsa_ieee_mode 1
		.amdhsa_fp16_overflow 0
		.amdhsa_workgroup_processor_mode 1
		.amdhsa_memory_ordered 1
		.amdhsa_forward_progress 0
		.amdhsa_shared_vgpr_count 0
		.amdhsa_exception_fp_ieee_invalid_op 0
		.amdhsa_exception_fp_denorm_src 0
		.amdhsa_exception_fp_ieee_div_zero 0
		.amdhsa_exception_fp_ieee_overflow 0
		.amdhsa_exception_fp_ieee_underflow 0
		.amdhsa_exception_fp_ieee_inexact 0
		.amdhsa_exception_int_div_zero 0
	.end_amdhsa_kernel
	.section	.text._ZN2at6native12_GLOBAL__N_143distribution_elementwise_grid_stride_kernelIfLi4EZNS0_9templates4cuda21uniform_and_transformIffPNS_17CUDAGeneratorImplEZZZNS4_16geometric_kernelIS7_EEvRNS_18TensorIteratorBaseEdT_ENKUlvE_clEvENKUlvE5_clEvEUlfE_EEvSA_T1_T2_EUlP25hiprandStatePhilox4_32_10E_ZNS1_27distribution_nullary_kernelIff15HIP_vector_typeIdLj2EES7_SJ_SE_EEvSA_SG_RKT3_T4_EUlifE_EEvlNS_15PhiloxCudaStateESF_SG_,"axG",@progbits,_ZN2at6native12_GLOBAL__N_143distribution_elementwise_grid_stride_kernelIfLi4EZNS0_9templates4cuda21uniform_and_transformIffPNS_17CUDAGeneratorImplEZZZNS4_16geometric_kernelIS7_EEvRNS_18TensorIteratorBaseEdT_ENKUlvE_clEvENKUlvE5_clEvEUlfE_EEvSA_T1_T2_EUlP25hiprandStatePhilox4_32_10E_ZNS1_27distribution_nullary_kernelIff15HIP_vector_typeIdLj2EES7_SJ_SE_EEvSA_SG_RKT3_T4_EUlifE_EEvlNS_15PhiloxCudaStateESF_SG_,comdat
.Lfunc_end24:
	.size	_ZN2at6native12_GLOBAL__N_143distribution_elementwise_grid_stride_kernelIfLi4EZNS0_9templates4cuda21uniform_and_transformIffPNS_17CUDAGeneratorImplEZZZNS4_16geometric_kernelIS7_EEvRNS_18TensorIteratorBaseEdT_ENKUlvE_clEvENKUlvE5_clEvEUlfE_EEvSA_T1_T2_EUlP25hiprandStatePhilox4_32_10E_ZNS1_27distribution_nullary_kernelIff15HIP_vector_typeIdLj2EES7_SJ_SE_EEvSA_SG_RKT3_T4_EUlifE_EEvlNS_15PhiloxCudaStateESF_SG_, .Lfunc_end24-_ZN2at6native12_GLOBAL__N_143distribution_elementwise_grid_stride_kernelIfLi4EZNS0_9templates4cuda21uniform_and_transformIffPNS_17CUDAGeneratorImplEZZZNS4_16geometric_kernelIS7_EEvRNS_18TensorIteratorBaseEdT_ENKUlvE_clEvENKUlvE5_clEvEUlfE_EEvSA_T1_T2_EUlP25hiprandStatePhilox4_32_10E_ZNS1_27distribution_nullary_kernelIff15HIP_vector_typeIdLj2EES7_SJ_SE_EEvSA_SG_RKT3_T4_EUlifE_EEvlNS_15PhiloxCudaStateESF_SG_
                                        ; -- End function
	.section	.AMDGPU.csdata,"",@progbits
; Kernel info:
; codeLenInByte = 4204
; NumSgprs: 25
; NumVgprs: 48
; ScratchSize: 0
; MemoryBound: 0
; FloatMode: 240
; IeeeMode: 1
; LDSByteSize: 0 bytes/workgroup (compile time only)
; SGPRBlocks: 3
; VGPRBlocks: 5
; NumSGPRsForWavesPerEU: 25
; NumVGPRsForWavesPerEU: 48
; Occupancy: 16
; WaveLimiterHint : 0
; COMPUTE_PGM_RSRC2:SCRATCH_EN: 0
; COMPUTE_PGM_RSRC2:USER_SGPR: 15
; COMPUTE_PGM_RSRC2:TRAP_HANDLER: 0
; COMPUTE_PGM_RSRC2:TGID_X_EN: 1
; COMPUTE_PGM_RSRC2:TGID_Y_EN: 0
; COMPUTE_PGM_RSRC2:TGID_Z_EN: 0
; COMPUTE_PGM_RSRC2:TIDIG_COMP_CNT: 0
	.section	.text._ZN2at6native12_GLOBAL__N_143distribution_elementwise_grid_stride_kernelIfLi4EZNS0_9templates4cuda21uniform_and_transformIffPNS_17CUDAGeneratorImplEZZZNS4_16geometric_kernelIS7_EEvRNS_18TensorIteratorBaseEdT_ENKUlvE_clEvENKUlvE5_clEvEUlfE_EEvSA_T1_T2_EUlP25hiprandStatePhilox4_32_10E_ZNS1_27distribution_nullary_kernelIff15HIP_vector_typeIdLj2EES7_SJ_SE_EEvSA_SG_RKT3_T4_EUlifE0_EEvlNS_15PhiloxCudaStateESF_SG_,"axG",@progbits,_ZN2at6native12_GLOBAL__N_143distribution_elementwise_grid_stride_kernelIfLi4EZNS0_9templates4cuda21uniform_and_transformIffPNS_17CUDAGeneratorImplEZZZNS4_16geometric_kernelIS7_EEvRNS_18TensorIteratorBaseEdT_ENKUlvE_clEvENKUlvE5_clEvEUlfE_EEvSA_T1_T2_EUlP25hiprandStatePhilox4_32_10E_ZNS1_27distribution_nullary_kernelIff15HIP_vector_typeIdLj2EES7_SJ_SE_EEvSA_SG_RKT3_T4_EUlifE0_EEvlNS_15PhiloxCudaStateESF_SG_,comdat
	.globl	_ZN2at6native12_GLOBAL__N_143distribution_elementwise_grid_stride_kernelIfLi4EZNS0_9templates4cuda21uniform_and_transformIffPNS_17CUDAGeneratorImplEZZZNS4_16geometric_kernelIS7_EEvRNS_18TensorIteratorBaseEdT_ENKUlvE_clEvENKUlvE5_clEvEUlfE_EEvSA_T1_T2_EUlP25hiprandStatePhilox4_32_10E_ZNS1_27distribution_nullary_kernelIff15HIP_vector_typeIdLj2EES7_SJ_SE_EEvSA_SG_RKT3_T4_EUlifE0_EEvlNS_15PhiloxCudaStateESF_SG_ ; -- Begin function _ZN2at6native12_GLOBAL__N_143distribution_elementwise_grid_stride_kernelIfLi4EZNS0_9templates4cuda21uniform_and_transformIffPNS_17CUDAGeneratorImplEZZZNS4_16geometric_kernelIS7_EEvRNS_18TensorIteratorBaseEdT_ENKUlvE_clEvENKUlvE5_clEvEUlfE_EEvSA_T1_T2_EUlP25hiprandStatePhilox4_32_10E_ZNS1_27distribution_nullary_kernelIff15HIP_vector_typeIdLj2EES7_SJ_SE_EEvSA_SG_RKT3_T4_EUlifE0_EEvlNS_15PhiloxCudaStateESF_SG_
	.p2align	8
	.type	_ZN2at6native12_GLOBAL__N_143distribution_elementwise_grid_stride_kernelIfLi4EZNS0_9templates4cuda21uniform_and_transformIffPNS_17CUDAGeneratorImplEZZZNS4_16geometric_kernelIS7_EEvRNS_18TensorIteratorBaseEdT_ENKUlvE_clEvENKUlvE5_clEvEUlfE_EEvSA_T1_T2_EUlP25hiprandStatePhilox4_32_10E_ZNS1_27distribution_nullary_kernelIff15HIP_vector_typeIdLj2EES7_SJ_SE_EEvSA_SG_RKT3_T4_EUlifE0_EEvlNS_15PhiloxCudaStateESF_SG_,@function
_ZN2at6native12_GLOBAL__N_143distribution_elementwise_grid_stride_kernelIfLi4EZNS0_9templates4cuda21uniform_and_transformIffPNS_17CUDAGeneratorImplEZZZNS4_16geometric_kernelIS7_EEvRNS_18TensorIteratorBaseEdT_ENKUlvE_clEvENKUlvE5_clEvEUlfE_EEvSA_T1_T2_EUlP25hiprandStatePhilox4_32_10E_ZNS1_27distribution_nullary_kernelIff15HIP_vector_typeIdLj2EES7_SJ_SE_EEvSA_SG_RKT3_T4_EUlifE0_EEvlNS_15PhiloxCudaStateESF_SG_: ; @_ZN2at6native12_GLOBAL__N_143distribution_elementwise_grid_stride_kernelIfLi4EZNS0_9templates4cuda21uniform_and_transformIffPNS_17CUDAGeneratorImplEZZZNS4_16geometric_kernelIS7_EEvRNS_18TensorIteratorBaseEdT_ENKUlvE_clEvENKUlvE5_clEvEUlfE_EEvSA_T1_T2_EUlP25hiprandStatePhilox4_32_10E_ZNS1_27distribution_nullary_kernelIff15HIP_vector_typeIdLj2EES7_SJ_SE_EEvSA_SG_RKT3_T4_EUlifE0_EEvlNS_15PhiloxCudaStateESF_SG_
; %bb.0:
	s_clause 0x2
	s_load_b64 s[4:5], s[0:1], 0x10
	s_load_b128 s[16:19], s[0:1], 0x0
	s_load_b32 s2, s[0:1], 0x20
	s_waitcnt lgkmcnt(0)
	v_dual_mov_b32 v2, s4 :: v_dual_mov_b32 v3, s5
	v_dual_mov_b32 v8, s18 :: v_dual_mov_b32 v9, s19
	s_bitcmp0_b32 s2, 0
	s_mov_b32 s2, 0
	s_cbranch_scc1 .LBB25_2
; %bb.1:
	v_dual_mov_b32 v1, s4 :: v_dual_mov_b32 v2, s5
	v_dual_mov_b32 v4, s18 :: v_dual_mov_b32 v5, s19
	s_load_b64 s[4:5], s[0:1], 0x18
	flat_load_b64 v[2:3], v[1:2]
	flat_load_b64 v[8:9], v[4:5]
	s_waitcnt vmcnt(1) lgkmcnt(0)
	v_add_co_u32 v2, vcc_lo, v2, s4
	v_add_co_ci_u32_e32 v3, vcc_lo, s5, v3, vcc_lo
.LBB25_2:
	s_clause 0x1
	s_load_b32 s3, s[0:1], 0x154
	s_load_b32 s4, s[0:1], 0x148
	s_waitcnt lgkmcnt(0)
	s_and_b32 s5, s3, 0xffff
	s_add_u32 s6, s16, -1
	s_mul_i32 s24, s4, s5
	s_addc_u32 s3, s17, -1
	s_lshl_b32 s25, s24, 2
	s_cmp_lg_u64 s[2:3], 0
	s_cbranch_scc0 .LBB25_79
; %bb.3:
	v_cvt_f32_ubyte0_e32 v1, 0
	v_cvt_f32_u32_e32 v4, s25
	s_sub_u32 s8, 0, s25
	s_subb_u32 s9, 0, 0
	s_delay_alu instid0(VALU_DEP_1) | instskip(NEXT) | instid1(VALU_DEP_1)
	v_fmamk_f32 v1, v1, 0x4f800000, v4
	v_rcp_f32_e32 v1, v1
	s_waitcnt_depctr 0xfff
	v_mul_f32_e32 v1, 0x5f7ffffc, v1
	s_delay_alu instid0(VALU_DEP_1) | instskip(NEXT) | instid1(VALU_DEP_1)
	v_mul_f32_e32 v4, 0x2f800000, v1
	v_trunc_f32_e32 v4, v4
	s_delay_alu instid0(VALU_DEP_1) | instskip(SKIP_1) | instid1(VALU_DEP_2)
	v_fmamk_f32 v1, v4, 0xcf800000, v1
	v_cvt_u32_f32_e32 v4, v4
	v_cvt_u32_f32_e32 v1, v1
	s_delay_alu instid0(VALU_DEP_2) | instskip(NEXT) | instid1(VALU_DEP_2)
	v_readfirstlane_b32 s2, v4
	v_readfirstlane_b32 s7, v1
	s_delay_alu instid0(VALU_DEP_2) | instskip(NEXT) | instid1(VALU_DEP_1)
	s_mul_i32 s10, s8, s2
	s_mul_hi_u32 s12, s8, s7
	s_mul_i32 s11, s9, s7
	s_add_i32 s10, s12, s10
	s_mul_i32 s13, s8, s7
	s_add_i32 s10, s10, s11
	s_mul_hi_u32 s12, s7, s13
	s_mul_hi_u32 s14, s2, s13
	s_mul_i32 s11, s2, s13
	s_mul_hi_u32 s13, s7, s10
	s_mul_i32 s7, s7, s10
	s_mul_hi_u32 s18, s2, s10
	s_add_u32 s7, s12, s7
	s_addc_u32 s12, 0, s13
	s_add_u32 s7, s7, s11
	s_mul_i32 s10, s2, s10
	s_addc_u32 s7, s12, s14
	s_addc_u32 s11, s18, 0
	s_add_u32 s7, s7, s10
	s_addc_u32 s10, 0, s11
	v_add_co_u32 v1, s7, v1, s7
	s_delay_alu instid0(VALU_DEP_1) | instskip(SKIP_1) | instid1(VALU_DEP_1)
	s_cmp_lg_u32 s7, 0
	s_addc_u32 s2, s2, s10
	v_readfirstlane_b32 s7, v1
	s_mul_i32 s10, s8, s2
	s_delay_alu instid0(VALU_DEP_1)
	s_mul_hi_u32 s11, s8, s7
	s_mul_i32 s9, s9, s7
	s_add_i32 s10, s11, s10
	s_mul_i32 s8, s8, s7
	s_add_i32 s10, s10, s9
	s_mul_hi_u32 s11, s2, s8
	s_mul_i32 s12, s2, s8
	s_mul_hi_u32 s8, s7, s8
	s_mul_hi_u32 s13, s7, s10
	s_mul_i32 s7, s7, s10
	s_mul_hi_u32 s9, s2, s10
	s_add_u32 s7, s8, s7
	s_addc_u32 s8, 0, s13
	s_add_u32 s7, s7, s12
	s_mul_i32 s10, s2, s10
	s_addc_u32 s7, s8, s11
	s_addc_u32 s8, s9, 0
	s_add_u32 s7, s7, s10
	s_addc_u32 s8, 0, s8
	v_add_co_u32 v1, s7, v1, s7
	s_delay_alu instid0(VALU_DEP_1) | instskip(SKIP_2) | instid1(VALU_DEP_1)
	s_cmp_lg_u32 s7, 0
	s_addc_u32 s7, s2, s8
	s_ashr_i32 s8, s3, 31
	v_readfirstlane_b32 s10, v1
	s_add_u32 s2, s6, s8
	s_mov_b32 s9, s8
	s_addc_u32 s3, s3, s8
	s_delay_alu instid0(SALU_CYCLE_1) | instskip(NEXT) | instid1(SALU_CYCLE_1)
	s_xor_b64 s[2:3], s[2:3], s[8:9]
	s_mul_i32 s12, s2, s7
	s_mul_hi_u32 s13, s2, s10
	s_mul_hi_u32 s11, s2, s7
	;; [unrolled: 1-line block ×3, first 2 shown]
	s_mul_i32 s10, s3, s10
	s_add_u32 s12, s13, s12
	s_addc_u32 s11, 0, s11
	s_mul_hi_u32 s14, s3, s7
	s_add_u32 s10, s12, s10
	s_mul_i32 s7, s3, s7
	s_addc_u32 s10, s11, s18
	s_addc_u32 s11, s14, 0
	s_add_u32 s7, s10, s7
	s_addc_u32 s10, 0, s11
	s_mul_i32 s12, s25, s7
	s_add_u32 s11, s7, 1
	v_sub_co_u32 v1, s2, s2, s12
	s_mul_hi_u32 s12, s25, s7
	s_addc_u32 s13, s10, 0
	s_mul_i32 s14, s25, s10
	s_delay_alu instid0(VALU_DEP_1)
	v_sub_co_u32 v4, s18, v1, s25
	s_add_u32 s19, s7, 2
	s_addc_u32 s20, s10, 0
	s_add_i32 s12, s12, s14
	s_cmp_lg_u32 s2, 0
	v_readfirstlane_b32 s2, v4
	s_subb_u32 s3, s3, s12
	s_cmp_lg_u32 s18, 0
	s_subb_u32 s12, s3, 0
	s_delay_alu instid0(VALU_DEP_1) | instskip(SKIP_4) | instid1(SALU_CYCLE_1)
	s_cmp_ge_u32 s2, s25
	s_cselect_b32 s2, -1, 0
	s_cmp_eq_u32 s12, 0
	v_readfirstlane_b32 s12, v1
	s_cselect_b32 s2, s2, -1
	s_cmp_lg_u32 s2, 0
	s_cselect_b32 s2, s19, s11
	s_cselect_b32 s11, s20, s13
	s_cmp_ge_u32 s12, s25
	s_cselect_b32 s12, -1, 0
	s_cmp_eq_u32 s3, 0
	s_cselect_b32 s3, s12, -1
	s_delay_alu instid0(SALU_CYCLE_1) | instskip(SKIP_2) | instid1(SALU_CYCLE_1)
	s_cmp_lg_u32 s3, 0
	s_cselect_b32 s3, s11, s10
	s_cselect_b32 s2, s2, s7
	s_xor_b64 s[2:3], s[2:3], s[8:9]
	s_delay_alu instid0(SALU_CYCLE_1)
	s_sub_u32 s2, s2, s8
	s_subb_u32 s3, s3, s8
	s_cbranch_execnz .LBB25_5
.LBB25_4:
	v_cvt_f32_u32_e32 v1, s25
	s_sub_i32 s3, 0, s25
	s_delay_alu instid0(VALU_DEP_1) | instskip(SKIP_2) | instid1(VALU_DEP_1)
	v_rcp_iflag_f32_e32 v1, v1
	s_waitcnt_depctr 0xfff
	v_mul_f32_e32 v1, 0x4f7ffffe, v1
	v_cvt_u32_f32_e32 v1, v1
	s_delay_alu instid0(VALU_DEP_1) | instskip(NEXT) | instid1(VALU_DEP_1)
	v_readfirstlane_b32 s2, v1
	s_mul_i32 s3, s3, s2
	s_delay_alu instid0(SALU_CYCLE_1) | instskip(NEXT) | instid1(SALU_CYCLE_1)
	s_mul_hi_u32 s3, s2, s3
	s_add_i32 s2, s2, s3
	s_delay_alu instid0(SALU_CYCLE_1) | instskip(NEXT) | instid1(SALU_CYCLE_1)
	s_mul_hi_u32 s2, s6, s2
	s_mul_i32 s3, s2, s25
	s_delay_alu instid0(SALU_CYCLE_1)
	s_sub_i32 s3, s6, s3
	s_add_i32 s6, s2, 1
	s_sub_i32 s7, s3, s25
	s_cmp_ge_u32 s3, s25
	s_cselect_b32 s2, s6, s2
	s_cselect_b32 s3, s7, s3
	s_add_i32 s6, s2, 1
	s_cmp_ge_u32 s3, s25
	s_mov_b32 s3, 0
	s_cselect_b32 s2, s6, s2
.LBB25_5:
	v_mov_b32_e32 v1, 0
	s_add_u32 s2, s2, 1
	s_addc_u32 s3, s3, 0
	s_mul_hi_u32 s6, s24, s2
	s_mul_i32 s3, s24, s3
	v_mad_u64_u32 v[10:11], null, s5, s15, v[0:1]
	s_mul_hi_u32 s4, s4, s5
	s_add_i32 s3, s6, s3
	s_mul_i32 s4, s4, s2
	s_mul_i32 s2, s24, s2
	s_add_i32 s3, s3, s4
	s_mov_b32 s4, exec_lo
	s_lshl_b64 s[2:3], s[2:3], 2
	s_delay_alu instid0(SALU_CYCLE_1)
	v_cmpx_gt_i64_e64 s[2:3], v[10:11]
	s_cbranch_execz .LBB25_78
; %bb.6:
	s_load_b128 s[12:15], s[0:1], 0x138
	s_mov_b32 s4, 0x3e9b6dac
	v_alignbit_b32 v22, v3, v2, 2
	v_lshrrev_b32_e32 v23, 2, v3
	v_log_f32_e32 v35, s0
	s_waitcnt vmcnt(0)
	v_add_co_u32 v21, null, 0x9e3779b9, v8
	v_add_co_u32 v24, null, 0x3c6ef372, v8
	;; [unrolled: 1-line block ×7, first 2 shown]
	s_add_u32 s18, s0, 48
	s_waitcnt lgkmcnt(0)
	v_cvt_f32_f64_e32 v12, s[14:15]
	s_load_b64 s[14:15], s[0:1], 0xf4
	s_addc_u32 s19, s1, 0
	s_mov_b32 s26, 0
	s_mul_i32 s33, s24, 3
	s_delay_alu instid0(VALU_DEP_1) | instskip(NEXT) | instid1(VALU_DEP_1)
	v_sub_f32_e32 v4, 1.0, v12
	v_cvt_f64_f32_e32 v[0:1], v4
	s_delay_alu instid0(VALU_DEP_1) | instskip(SKIP_1) | instid1(VALU_DEP_1)
	v_frexp_exp_i32_f64_e32 v0, v[0:1]
	v_frexp_mant_f32_e32 v1, v4
	v_cmp_gt_f32_e32 vcc_lo, 0x3f2aaaab, v1
	s_delay_alu instid0(VALU_DEP_3) | instskip(SKIP_2) | instid1(VALU_DEP_3)
	v_subrev_co_ci_u32_e32 v5, vcc_lo, 0, v0, vcc_lo
	v_add_f32_e32 v0, -1.0, v4
	v_cmp_eq_f32_e32 vcc_lo, 0xff800000, v12
	v_sub_nc_u32_e32 v1, 0, v5
	v_cvt_f32_i32_e32 v5, v5
	s_delay_alu instid0(VALU_DEP_4) | instskip(SKIP_1) | instid1(VALU_DEP_4)
	v_sub_f32_e32 v6, v0, v4
	v_sub_f32_e64 v0, -v12, v0
	v_ldexp_f32 v4, v4, v1
	s_delay_alu instid0(VALU_DEP_1) | instskip(NEXT) | instid1(VALU_DEP_1)
	v_dual_add_f32 v6, 1.0, v6 :: v_dual_add_f32 v7, 1.0, v4
	v_add_f32_e32 v0, v0, v6
	s_delay_alu instid0(VALU_DEP_2) | instskip(NEXT) | instid1(VALU_DEP_2)
	v_add_f32_e32 v6, -1.0, v7
	v_ldexp_f32 v0, v0, v1
	s_delay_alu instid0(VALU_DEP_2) | instskip(NEXT) | instid1(VALU_DEP_1)
	v_dual_add_f32 v1, -1.0, v4 :: v_dual_sub_f32 v6, v4, v6
	v_dual_add_f32 v13, 1.0, v1 :: v_dual_add_f32 v6, v0, v6
	s_delay_alu instid0(VALU_DEP_1) | instskip(NEXT) | instid1(VALU_DEP_1)
	v_dual_sub_f32 v4, v4, v13 :: v_dual_add_f32 v13, v7, v6
	v_add_f32_e32 v0, v0, v4
	s_delay_alu instid0(VALU_DEP_2) | instskip(SKIP_1) | instid1(VALU_DEP_2)
	v_rcp_f32_e32 v4, v13
	v_sub_f32_e32 v7, v13, v7
	v_add_f32_e32 v14, v1, v0
	s_delay_alu instid0(VALU_DEP_2) | instskip(SKIP_2) | instid1(VALU_DEP_1)
	v_sub_f32_e32 v6, v6, v7
	s_waitcnt_depctr 0xfff
	v_mul_f32_e32 v15, v14, v4
	v_mul_f32_e32 v16, v13, v15
	s_delay_alu instid0(VALU_DEP_1) | instskip(NEXT) | instid1(VALU_DEP_1)
	v_fma_f32 v7, v15, v13, -v16
	v_fmac_f32_e32 v7, v15, v6
	s_delay_alu instid0(VALU_DEP_1) | instskip(SKIP_1) | instid1(VALU_DEP_2)
	v_add_f32_e32 v17, v16, v7
	v_sub_f32_e32 v1, v14, v1
	v_sub_f32_e32 v18, v14, v17
	s_delay_alu instid0(VALU_DEP_2) | instskip(NEXT) | instid1(VALU_DEP_1)
	v_dual_sub_f32 v0, v0, v1 :: v_dual_sub_f32 v1, v17, v16
	v_dual_sub_f32 v14, v14, v18 :: v_dual_sub_f32 v1, v1, v7
	s_delay_alu instid0(VALU_DEP_1) | instskip(NEXT) | instid1(VALU_DEP_1)
	v_sub_f32_e32 v14, v14, v17
	v_add_f32_e32 v0, v0, v14
	s_delay_alu instid0(VALU_DEP_1) | instskip(NEXT) | instid1(VALU_DEP_1)
	v_add_f32_e32 v0, v1, v0
	v_add_f32_e32 v1, v18, v0
	s_delay_alu instid0(VALU_DEP_1) | instskip(NEXT) | instid1(VALU_DEP_1)
	v_mul_f32_e32 v7, v4, v1
	v_mul_f32_e32 v14, v13, v7
	s_delay_alu instid0(VALU_DEP_1) | instskip(NEXT) | instid1(VALU_DEP_1)
	v_fma_f32 v13, v7, v13, -v14
	v_fmac_f32_e32 v13, v7, v6
	v_sub_f32_e32 v17, v18, v1
	v_add_co_u32 v18, null, 0x5384540f, v8
	s_delay_alu instid0(VALU_DEP_3) | instskip(NEXT) | instid1(VALU_DEP_3)
	v_add_f32_e32 v6, v14, v13
	v_add_f32_e32 v0, v0, v17
	s_delay_alu instid0(VALU_DEP_2) | instskip(NEXT) | instid1(VALU_DEP_1)
	v_dual_sub_f32 v16, v1, v6 :: v_dual_add_nc_u32 v17, 0x96a522ad, v9
	v_dual_sub_f32 v14, v6, v14 :: v_dual_sub_f32 v1, v1, v16
	s_delay_alu instid0(VALU_DEP_1) | instskip(NEXT) | instid1(VALU_DEP_1)
	v_dual_sub_f32 v1, v1, v6 :: v_dual_sub_f32 v6, v14, v13
	v_dual_add_f32 v13, v15, v7 :: v_dual_add_f32 v0, v0, v1
	s_delay_alu instid0(VALU_DEP_1) | instskip(NEXT) | instid1(VALU_DEP_2)
	v_sub_f32_e32 v1, v13, v15
	v_dual_add_f32 v0, v6, v0 :: v_dual_and_b32 v15, 3, v2
	s_delay_alu instid0(VALU_DEP_1) | instskip(NEXT) | instid1(VALU_DEP_1)
	v_dual_sub_f32 v1, v7, v1 :: v_dual_add_f32 v0, v16, v0
	v_mul_f32_e32 v0, v4, v0
	s_delay_alu instid0(VALU_DEP_1) | instskip(NEXT) | instid1(VALU_DEP_1)
	v_add_f32_e32 v4, v1, v0
	v_add_f32_e32 v6, v13, v4
	s_delay_alu instid0(VALU_DEP_1) | instskip(SKIP_1) | instid1(VALU_DEP_2)
	v_mul_f32_e32 v0, v6, v6
	v_ldexp_f32 v3, v6, 1
	v_fmaak_f32 v1, s4, v0, 0x3ecc95a3
	v_mul_f32_e32 v2, v6, v0
	v_sub_f32_e32 v6, v6, v13
	v_mul_f32_e32 v13, 0x3f317218, v5
	s_load_b256 s[4:11], s[0:1], 0x30
	v_fmaak_f32 v7, v0, v1, 0x3f2aaada
	v_mad_u64_u32 v[0:1], null, 0xcd9e8d57, v10, 0
	v_sub_f32_e32 v4, v4, v6
	v_fma_f32 v6, 0x3f317218, v5, -v13
	s_delay_alu instid0(VALU_DEP_4)
	v_mul_f32_e32 v2, v2, v7
	s_waitcnt lgkmcnt(0)
	v_cmp_gt_f32_e64 s11, 0x33800000, |v12|
	v_ldexp_f32 v4, v4, 1
	v_fmamk_f32 v31, v5, 0xb102e308, v6
	v_add_f32_e32 v7, v3, v2
	v_xor3_b32 v1, v8, v1, v23
	s_delay_alu instid0(VALU_DEP_3) | instskip(NEXT) | instid1(VALU_DEP_3)
	v_add_f32_e32 v33, v13, v31
	v_sub_f32_e32 v3, v7, v3
	s_delay_alu instid0(VALU_DEP_1) | instskip(SKIP_1) | instid1(SALU_CYCLE_1)
	v_dual_sub_f32 v13, v33, v13 :: v_dual_sub_f32 v2, v2, v3
	s_add_i32 s20, s4, -1
	s_cmp_gt_u32 s20, 1
	s_delay_alu instid0(VALU_DEP_1) | instskip(SKIP_1) | instid1(VALU_DEP_2)
	v_dual_sub_f32 v13, v31, v13 :: v_dual_add_f32 v32, v4, v2
	v_mad_u64_u32 v[2:3], null, 0xd2511f53, v22, 0
	v_add_f32_e32 v34, v7, v32
	v_add_nc_u32_e32 v16, 0x8ff34781, v8
	s_delay_alu instid0(VALU_DEP_3) | instskip(NEXT) | instid1(VALU_DEP_3)
	v_xor_b32_e32 v5, v3, v9
	v_dual_sub_f32 v7, v34, v7 :: v_dual_add_f32 v36, v33, v34
	v_mov_b32_e32 v14, v9
	v_mad_u64_u32 v[3:4], null, 0xd2511f53, v1, 0
	s_delay_alu instid0(VALU_DEP_4) | instskip(NEXT) | instid1(VALU_DEP_4)
	v_xor_b32_e32 v1, v5, v11
	v_sub_f32_e32 v37, v36, v33
	s_delay_alu instid0(VALU_DEP_4) | instskip(SKIP_1) | instid1(VALU_DEP_4)
	v_add_co_u32 v30, null, 0xbb67ae85, v14
	v_sub_f32_e32 v38, v32, v7
	v_mad_u64_u32 v[5:6], null, 0xcd9e8d57, v1, 0
	s_delay_alu instid0(VALU_DEP_4) | instskip(NEXT) | instid1(VALU_DEP_4)
	v_sub_f32_e32 v1, v36, v37
	v_xor3_b32 v4, v30, v4, v2
	v_sub_f32_e32 v7, v34, v37
	v_add_co_u32 v29, null, 0x646e171e, v14
	s_delay_alu instid0(VALU_DEP_4) | instskip(SKIP_3) | instid1(VALU_DEP_4)
	v_sub_f32_e32 v31, v33, v1
	v_xor3_b32 v0, v21, v6, v0
	v_mad_u64_u32 v[1:2], null, 0xcd9e8d57, v4, 0
	v_add_f32_e32 v4, v13, v38
	v_add_f32_e32 v32, v7, v31
	s_delay_alu instid0(VALU_DEP_4) | instskip(SKIP_1) | instid1(VALU_DEP_4)
	v_mad_u64_u32 v[6:7], null, 0xd2511f53, v0, 0
	v_add_co_u32 v31, null, 0x76cf5d0a, v14
	v_sub_f32_e32 v0, v4, v13
	s_delay_alu instid0(VALU_DEP_4) | instskip(SKIP_2) | instid1(VALU_DEP_4)
	v_add_f32_e32 v33, v4, v32
	v_xor3_b32 v2, v24, v2, v5
	v_add_co_u32 v32, null, 0x32370b8f, v14
	v_sub_f32_e32 v34, v4, v0
	s_delay_alu instid0(VALU_DEP_4)
	v_add_f32_e32 v37, v36, v33
	v_xor3_b32 v7, v31, v7, v3
	v_sub_f32_e32 v0, v38, v0
	v_mad_u64_u32 v[4:5], null, 0xd2511f53, v2, 0
	v_sub_f32_e32 v13, v13, v34
	v_sub_f32_e32 v34, v37, v36
	v_mad_u64_u32 v[2:3], null, 0xcd9e8d57, v7, 0
	v_mov_b32_e32 v28, v10
	s_delay_alu instid0(VALU_DEP_3)
	v_dual_add_f32 v0, v0, v13 :: v_dual_sub_f32 v13, v33, v34
	v_mul_f32_e32 v7, 0x3f317217, v35
	v_xor3_b32 v5, v32, v5, v6
	v_add_co_u32 v33, null, 0xed9eba14, v14
	v_xor3_b32 v3, v20, v3, v1
	v_add_f32_e32 v13, v0, v13
	v_fma_f32 v36, 0x3f317217, v35, -v7
	v_mad_u64_u32 v[0:1], null, 0xcd9e8d57, v5, 0
	s_delay_alu instid0(VALU_DEP_4) | instskip(NEXT) | instid1(VALU_DEP_3)
	v_mad_u64_u32 v[5:6], null, 0xd2511f53, v3, 0
	v_dual_add_f32 v3, v37, v13 :: v_dual_fmac_f32 v36, 0x3377d1cf, v35
	v_add_co_u32 v34, null, 0xa9066899, v14
	s_delay_alu instid0(VALU_DEP_4) | instskip(NEXT) | instid1(VALU_DEP_3)
	v_xor3_b32 v13, v25, v1, v2
	v_cndmask_b32_e64 v3, v3, -v12, vcc_lo
	v_cmp_nlt_f32_e32 vcc_lo, 1.0, v12
	v_add_f32_e32 v7, v7, v36
	v_xor3_b32 v6, v33, v6, v4
	v_mad_u64_u32 v[1:2], null, 0xd2511f53, v13, 0
	v_cndmask_b32_e32 v36, 0x7fc00000, v3, vcc_lo
	v_cmp_neq_f32_e32 vcc_lo, 1.0, v12
	s_delay_alu instid0(VALU_DEP_4) | instskip(SKIP_1) | instid1(VALU_DEP_4)
	v_mad_u64_u32 v[3:4], null, 0xcd9e8d57, v6, 0
	v_add_co_u32 v37, null, 0xdb3d7428, v14
	v_cndmask_b32_e32 v6, 0xff800000, v36, vcc_lo
	v_cmp_gt_f32_e64 vcc_lo, 0x7f800000, |v35|
	v_xor3_b32 v2, v34, v2, v5
	v_add_co_u32 v36, null, 0x1fd5c5a3, v14
	v_xor3_b32 v0, v19, v4, v0
	v_cndmask_b32_e32 v38, v35, v7, vcc_lo
	v_cndmask_b32_e64 v35, v6, -v12, s11
	v_mad_u64_u32 v[4:5], null, 0xcd9e8d57, v2, 0
	s_delay_alu instid0(VALU_DEP_4) | instskip(NEXT) | instid1(VALU_DEP_3)
	v_mad_u64_u32 v[6:7], null, 0xd2511f53, v0, 0
	v_div_scale_f32 v39, null, v35, v35, v38
	s_cselect_b32 s11, -1, 0
	s_cmp_lg_u32 s4, 0
	s_delay_alu instid0(VALU_DEP_3) | instskip(NEXT) | instid1(VALU_DEP_2)
	v_xor3_b32 v2, v26, v5, v3
	v_rcp_f32_e32 v40, v39
	s_delay_alu instid0(VALU_DEP_3) | instskip(SKIP_3) | instid1(VALU_DEP_2)
	v_xor3_b32 v5, v29, v7, v1
	s_cselect_b32 s27, -1, 0
	s_add_u32 s0, s0, 0xf4
	v_mad_u64_u32 v[0:1], null, 0xd2511f53, v2, 0
	v_mad_u64_u32 v[2:3], null, 0xcd9e8d57, v5, 0
	v_div_scale_f32 v5, vcc_lo, v38, v35, v38
	s_waitcnt_depctr 0xfff
	v_fma_f32 v7, -v39, v40, 1.0
	s_addc_u32 s1, s1, 0
	v_xor3_b32 v1, v36, v1, v6
	s_min_u32 s21, s20, 15
	v_xor3_b32 v6, v18, v3, v4
	v_fmac_f32_e32 v40, v7, v40
	s_cmp_gt_u32 s4, 1
	v_mad_u64_u32 v[3:4], null, 0xcd9e8d57, v1, 0
	s_delay_alu instid0(VALU_DEP_3) | instskip(NEXT) | instid1(VALU_DEP_3)
	v_mad_u64_u32 v[12:13], null, 0xd2511f53, v6, 0
	v_mul_f32_e32 v7, v5, v40
	s_cselect_b32 s4, -1, 0
	s_add_i32 s21, s21, 1
	s_lshl_b32 s28, s24, 1
	s_delay_alu instid0(VALU_DEP_3) | instskip(SKIP_1) | instid1(VALU_DEP_4)
	v_xor3_b32 v2, v27, v4, v2
	v_fma_f32 v1, -v39, v7, v5
	v_xor3_b32 v6, v37, v13, v0
	s_and_b32 s29, s21, 3
	s_cmp_lg_u32 s20, 2
	s_delay_alu instid0(VALU_DEP_2) | instskip(SKIP_3) | instid1(VALU_DEP_2)
	v_fmac_f32_e32 v7, v1, v40
	v_mad_u64_u32 v[0:1], null, 0xd2511f53, v2, 0
	s_cselect_b32 s30, -1, 0
	s_and_b32 s31, s21, 28
	v_fma_f32 v2, -v39, v7, v5
	v_mad_u64_u32 v[4:5], null, 0xcd9e8d57, v6, 0
	s_delay_alu instid0(VALU_DEP_3) | instskip(NEXT) | instid1(VALU_DEP_3)
	v_dual_mov_b32 v39, v11 :: v_dual_mov_b32 v6, v0
	v_div_fmas_f32 v2, v2, v40, v7
	s_cmp_lg_u32 s29, 0
	s_cselect_b32 s34, -1, 0
	s_delay_alu instid0(VALU_DEP_3) | instskip(NEXT) | instid1(VALU_DEP_2)
	v_xor3_b32 v3, v5, v3, v16
	v_div_fixup_f32 v2, v2, v35, v38
	v_xor3_b32 v5, v1, v12, v17
	s_delay_alu instid0(VALU_DEP_2)
	v_ceil_f32_e32 v38, v2
	s_branch .LBB25_9
.LBB25_7:                               ;   in Loop: Header=BB25_9 Depth=1
	global_store_b32 v4, v38, s[12:13]
.LBB25_8:                               ;   in Loop: Header=BB25_9 Depth=1
	s_or_b32 exec_lo, exec_lo, s35
	v_add_co_u32 v10, vcc_lo, v10, s25
	v_add_co_ci_u32_e32 v11, vcc_lo, 0, v11, vcc_lo
	v_mov_b32_e32 v3, v12
	s_waitcnt_vscnt null, 0x0
	s_barrier
	s_delay_alu instid0(VALU_DEP_2)
	v_cmp_le_i64_e32 vcc_lo, s[2:3], v[10:11]
	buffer_gl0_inv
	v_mov_b32_e32 v6, v3
	v_dual_mov_b32 v5, v2 :: v_dual_mov_b32 v4, v1
	v_mov_b32_e32 v3, v0
	s_or_b32 s26, vcc_lo, s26
	s_delay_alu instid0(SALU_CYCLE_1)
	s_and_not1_b32 exec_lo, exec_lo, s26
	s_cbranch_execz .LBB25_78
.LBB25_9:                               ; =>This Loop Header: Depth=1
                                        ;     Child Loop BB25_24 Depth 2
                                        ;     Child Loop BB25_29 Depth 2
	;; [unrolled: 1-line block ×8, first 2 shown]
	v_add_co_u32 v22, vcc_lo, v22, 1
	s_delay_alu instid0(VALU_DEP_1) | instskip(SKIP_2) | instid1(VALU_DEP_1)
	v_cndmask_b32_e64 v0, 0, 1, vcc_lo
	v_add_co_ci_u32_e32 v23, vcc_lo, 0, v23, vcc_lo
	s_mov_b32 s20, exec_lo
	v_cmp_eq_u32_e32 vcc_lo, 0, v23
	s_delay_alu instid0(VALU_DEP_3) | instskip(NEXT) | instid1(VALU_DEP_1)
	v_cndmask_b32_e32 v0, 0, v0, vcc_lo
	v_add_nc_u32_e32 v28, v0, v28
	s_delay_alu instid0(VALU_DEP_1) | instskip(SKIP_2) | instid1(VALU_DEP_2)
	v_cmp_eq_u32_e32 vcc_lo, 0, v28
	v_mad_u64_u32 v[12:13], null, 0xcd9e8d57, v28, 0
	v_cndmask_b32_e32 v0, 0, v0, vcc_lo
	v_xor3_b32 v7, v13, v8, v23
	s_delay_alu instid0(VALU_DEP_2) | instskip(SKIP_1) | instid1(VALU_DEP_1)
	v_add_nc_u32_e32 v39, v0, v39
	v_mad_u64_u32 v[0:1], null, 0xd2511f53, v22, 0
	v_xor_b32_e32 v1, v1, v9
	s_delay_alu instid0(VALU_DEP_1) | instskip(SKIP_1) | instid1(VALU_DEP_2)
	v_xor_b32_e32 v40, v39, v1
	v_mad_u64_u32 v[1:2], null, 0xd2511f53, v7, 0
	v_mad_u64_u32 v[13:14], null, 0xcd9e8d57, v40, 0
	s_delay_alu instid0(VALU_DEP_2) | instskip(NEXT) | instid1(VALU_DEP_2)
	v_xor3_b32 v0, v30, v2, v0
	v_xor3_b32 v2, v21, v14, v12
	s_delay_alu instid0(VALU_DEP_2) | instskip(NEXT) | instid1(VALU_DEP_2)
	v_mad_u64_u32 v[40:41], null, 0xcd9e8d57, v0, 0
	v_mad_u64_u32 v[42:43], null, 0xd2511f53, v2, 0
	s_delay_alu instid0(VALU_DEP_2) | instskip(NEXT) | instid1(VALU_DEP_2)
	v_xor3_b32 v2, v24, v41, v13
	v_xor3_b32 v7, v31, v43, v1
	s_delay_alu instid0(VALU_DEP_2) | instskip(NEXT) | instid1(VALU_DEP_2)
	;; [unrolled: 6-line block ×8, first 2 shown]
	v_mad_u64_u32 v[12:13], null, 0xd2511f53, v0, 0
	v_mad_u64_u32 v[1:2], null, 0xcd9e8d57, v7, 0
	s_delay_alu instid0(VALU_DEP_2) | instskip(NEXT) | instid1(VALU_DEP_2)
	v_xor3_b32 v7, v13, v42, v17
	v_xor3_b32 v0, v2, v40, v16
	s_delay_alu instid0(VALU_DEP_2)
	v_mov_b32_e32 v2, v7
	v_cmpx_lt_i32_e32 1, v15
	s_xor_b32 s20, exec_lo, s20
	s_cbranch_execnz .LBB25_12
; %bb.10:                               ;   in Loop: Header=BB25_9 Depth=1
	s_and_not1_saveexec_b32 s20, s20
	s_cbranch_execnz .LBB25_17
.LBB25_11:                              ;   in Loop: Header=BB25_9 Depth=1
	s_or_b32 exec_lo, exec_lo, s20
	s_delay_alu instid0(SALU_CYCLE_1)
	s_mov_b32 s35, exec_lo
	v_cmpx_gt_i64_e64 s[16:17], v[10:11]
	s_cbranch_execnz .LBB25_20
	s_branch .LBB25_34
.LBB25_12:                              ;   in Loop: Header=BB25_9 Depth=1
	s_mov_b32 s21, exec_lo
	v_cmpx_lt_i32_e32 2, v15
	s_xor_b32 s21, exec_lo, s21
; %bb.13:                               ;   in Loop: Header=BB25_9 Depth=1
	v_dual_mov_b32 v4, v6 :: v_dual_mov_b32 v5, v0
	v_mov_b32_e32 v6, v1
	s_delay_alu instid0(VALU_DEP_2) | instskip(NEXT) | instid1(VALU_DEP_3)
	v_mov_b32_e32 v3, v4
	v_mov_b32_e32 v4, v5
	s_delay_alu instid0(VALU_DEP_3)
	v_mov_b32_e32 v5, v6
	v_mov_b32_e32 v6, v7
; %bb.14:                               ;   in Loop: Header=BB25_9 Depth=1
	s_and_not1_saveexec_b32 s21, s21
; %bb.15:                               ;   in Loop: Header=BB25_9 Depth=1
	s_delay_alu instid0(VALU_DEP_1)
	v_dual_mov_b32 v3, v5 :: v_dual_mov_b32 v4, v6
	v_dual_mov_b32 v5, v0 :: v_dual_mov_b32 v6, v1
; %bb.16:                               ;   in Loop: Header=BB25_9 Depth=1
	s_or_b32 exec_lo, exec_lo, s21
	s_and_not1_saveexec_b32 s20, s20
	s_cbranch_execz .LBB25_11
.LBB25_17:                              ;   in Loop: Header=BB25_9 Depth=1
	s_mov_b32 s21, exec_lo
	v_cmpx_eq_u32_e32 1, v15
; %bb.18:                               ;   in Loop: Header=BB25_9 Depth=1
	v_dual_mov_b32 v3, v4 :: v_dual_mov_b32 v4, v5
	v_dual_mov_b32 v5, v6 :: v_dual_mov_b32 v6, v0
; %bb.19:                               ;   in Loop: Header=BB25_9 Depth=1
	s_or_b32 exec_lo, exec_lo, s21
	s_delay_alu instid0(SALU_CYCLE_1) | instskip(NEXT) | instid1(SALU_CYCLE_1)
	s_or_b32 exec_lo, exec_lo, s20
	s_mov_b32 s35, exec_lo
	v_cmpx_gt_i64_e64 s[16:17], v[10:11]
	s_cbranch_execz .LBB25_34
.LBB25_20:                              ;   in Loop: Header=BB25_9 Depth=1
	s_and_not1_b32 vcc_lo, exec_lo, s11
	s_cbranch_vccnz .LBB25_26
; %bb.21:                               ;   in Loop: Header=BB25_9 Depth=1
	v_mov_b32_e32 v7, 0
	s_and_not1_b32 vcc_lo, exec_lo, s27
	s_cbranch_vccnz .LBB25_30
; %bb.22:                               ;   in Loop: Header=BB25_9 Depth=1
	s_and_not1_b32 vcc_lo, exec_lo, s30
	s_mov_b32 s20, 0
	s_cbranch_vccnz .LBB25_27
; %bb.23:                               ;   in Loop: Header=BB25_9 Depth=1
	v_mov_b32_e32 v7, 0
	v_mov_b32_e32 v13, v10
	s_mov_b32 s36, 0
	s_mov_b64 s[20:21], s[18:19]
	s_mov_b64 s[22:23], s[0:1]
.LBB25_24:                              ;   Parent Loop BB25_9 Depth=1
                                        ; =>  This Inner Loop Header: Depth=2
	s_clause 0x1
	s_load_b256 s[40:47], s[20:21], 0x4
	s_load_b128 s[48:51], s[20:21], 0x24
	s_load_b128 s[52:55], s[22:23], 0x0
	s_add_u32 s20, s20, 48
	s_addc_u32 s21, s21, 0
	s_add_i32 s36, s36, 4
	s_add_u32 s22, s22, 16
	s_addc_u32 s23, s23, 0
	s_cmp_lg_u32 s31, s36
	s_waitcnt lgkmcnt(0)
	v_mul_hi_u32 v14, s41, v13
	s_delay_alu instid0(VALU_DEP_1) | instskip(NEXT) | instid1(VALU_DEP_1)
	v_add_nc_u32_e32 v14, v13, v14
	v_lshrrev_b32_e32 v14, s42, v14
	s_delay_alu instid0(VALU_DEP_1) | instskip(SKIP_1) | instid1(VALU_DEP_2)
	v_mul_hi_u32 v40, s44, v14
	v_mul_lo_u32 v43, v14, s40
	v_add_nc_u32_e32 v40, v14, v40
	s_delay_alu instid0(VALU_DEP_2) | instskip(NEXT) | instid1(VALU_DEP_2)
	v_sub_nc_u32_e32 v43, v13, v43
	v_lshrrev_b32_e32 v40, s45, v40
	s_delay_alu instid0(VALU_DEP_2) | instskip(NEXT) | instid1(VALU_DEP_2)
	v_mul_lo_u32 v43, v43, s52
	v_mul_hi_u32 v41, s47, v40
	v_mul_lo_u32 v44, v40, s43
	s_delay_alu instid0(VALU_DEP_2) | instskip(NEXT) | instid1(VALU_DEP_2)
	v_add_nc_u32_e32 v41, v40, v41
	v_sub_nc_u32_e32 v14, v14, v44
	s_delay_alu instid0(VALU_DEP_2) | instskip(NEXT) | instid1(VALU_DEP_2)
	v_lshrrev_b32_e32 v41, s48, v41
	v_mul_lo_u32 v14, v14, s53
	s_delay_alu instid0(VALU_DEP_2) | instskip(NEXT) | instid1(VALU_DEP_2)
	v_mul_hi_u32 v42, s50, v41
	v_add3_u32 v7, v43, v7, v14
	s_delay_alu instid0(VALU_DEP_2) | instskip(NEXT) | instid1(VALU_DEP_1)
	v_add_nc_u32_e32 v42, v41, v42
	v_lshrrev_b32_e32 v13, s51, v42
	v_mul_lo_u32 v42, v41, s46
	s_delay_alu instid0(VALU_DEP_2) | instskip(NEXT) | instid1(VALU_DEP_2)
	v_mul_lo_u32 v45, v13, s49
	v_sub_nc_u32_e32 v40, v40, v42
	s_delay_alu instid0(VALU_DEP_2) | instskip(NEXT) | instid1(VALU_DEP_2)
	v_sub_nc_u32_e32 v41, v41, v45
	v_mul_lo_u32 v40, v40, s54
	s_delay_alu instid0(VALU_DEP_2) | instskip(NEXT) | instid1(VALU_DEP_1)
	v_mul_lo_u32 v41, v41, s55
	v_add3_u32 v7, v40, v7, v41
	s_cbranch_scc1 .LBB25_24
; %bb.25:                               ;   in Loop: Header=BB25_9 Depth=1
	s_mov_b32 s20, s31
	s_and_not1_b32 vcc_lo, exec_lo, s34
	s_cbranch_vccz .LBB25_28
	s_branch .LBB25_30
.LBB25_26:                              ;   in Loop: Header=BB25_9 Depth=1
                                        ; implicit-def: $vgpr7
	s_branch .LBB25_31
.LBB25_27:                              ;   in Loop: Header=BB25_9 Depth=1
	v_mov_b32_e32 v13, v10
	s_and_not1_b32 vcc_lo, exec_lo, s34
	s_cbranch_vccnz .LBB25_30
.LBB25_28:                              ;   in Loop: Header=BB25_9 Depth=1
	s_lshl_b32 s21, s20, 2
	s_mul_i32 s22, s20, 12
	s_add_u32 s20, s0, s21
	s_addc_u32 s21, s1, 0
	s_add_u32 s22, s18, s22
	s_addc_u32 s23, s19, 0
	s_mov_b32 s36, s29
	.p2align	6
.LBB25_29:                              ;   Parent Loop BB25_9 Depth=1
                                        ; =>  This Inner Loop Header: Depth=2
	s_clause 0x1
	s_load_b64 s[38:39], s[22:23], 0x4
	s_load_b32 s37, s[22:23], 0xc
	s_add_u32 s22, s22, 12
	s_addc_u32 s23, s23, 0
	s_waitcnt lgkmcnt(0)
	v_mul_hi_u32 v14, s39, v13
	s_load_b32 s39, s[20:21], 0x0
	s_add_u32 s20, s20, 4
	s_addc_u32 s21, s21, 0
	s_add_i32 s36, s36, -1
	s_delay_alu instid0(SALU_CYCLE_1) | instskip(NEXT) | instid1(VALU_DEP_1)
	s_cmp_lg_u32 s36, 0
	v_add_nc_u32_e32 v14, v13, v14
	s_delay_alu instid0(VALU_DEP_1) | instskip(NEXT) | instid1(VALU_DEP_1)
	v_lshrrev_b32_e32 v14, s37, v14
	v_mul_lo_u32 v40, v14, s38
	s_delay_alu instid0(VALU_DEP_1) | instskip(SKIP_1) | instid1(VALU_DEP_1)
	v_sub_nc_u32_e32 v13, v13, v40
	s_waitcnt lgkmcnt(0)
	v_mad_u64_u32 v[40:41], null, v13, s39, v[7:8]
	v_mov_b32_e32 v13, v14
	s_delay_alu instid0(VALU_DEP_2)
	v_mov_b32_e32 v7, v40
	s_cbranch_scc1 .LBB25_29
.LBB25_30:                              ;   in Loop: Header=BB25_9 Depth=1
	s_cbranch_execnz .LBB25_33
.LBB25_31:                              ;   in Loop: Header=BB25_9 Depth=1
	v_mul_hi_u32 v7, v10, s6
	s_and_not1_b32 vcc_lo, exec_lo, s4
	s_delay_alu instid0(VALU_DEP_1) | instskip(NEXT) | instid1(VALU_DEP_1)
	v_add_nc_u32_e32 v7, v7, v10
	v_lshrrev_b32_e32 v13, s7, v7
	s_delay_alu instid0(VALU_DEP_1) | instskip(NEXT) | instid1(VALU_DEP_1)
	v_mul_lo_u32 v7, v13, s5
	v_sub_nc_u32_e32 v7, v10, v7
	s_delay_alu instid0(VALU_DEP_1)
	v_mul_lo_u32 v7, v7, s14
	s_cbranch_vccnz .LBB25_33
; %bb.32:                               ;   in Loop: Header=BB25_9 Depth=1
	v_mul_hi_u32 v14, s9, v13
	s_delay_alu instid0(VALU_DEP_1) | instskip(NEXT) | instid1(VALU_DEP_1)
	v_add_nc_u32_e32 v14, v13, v14
	v_lshrrev_b32_e32 v14, s10, v14
	s_delay_alu instid0(VALU_DEP_1) | instskip(NEXT) | instid1(VALU_DEP_1)
	v_mul_lo_u32 v14, v14, s8
	v_sub_nc_u32_e32 v40, v13, v14
	s_delay_alu instid0(VALU_DEP_1) | instskip(NEXT) | instid1(VALU_DEP_1)
	v_mad_u64_u32 v[13:14], null, v40, s15, v[7:8]
	v_mov_b32_e32 v7, v13
.LBB25_33:                              ;   in Loop: Header=BB25_9 Depth=1
	v_lshrrev_b32_e32 v4, 11, v4
	s_delay_alu instid0(VALU_DEP_1) | instskip(SKIP_1) | instid1(VALU_DEP_2)
	v_cvt_f64_u32_e32 v[13:14], v4
	v_cvt_f64_u32_e32 v[3:4], v3
	v_ldexp_f64 v[13:14], v[13:14], 32
	s_delay_alu instid0(VALU_DEP_1) | instskip(NEXT) | instid1(VALU_DEP_1)
	v_add_f64 v[3:4], v[13:14], v[3:4]
	v_fma_f64 v[3:4], 0x3ca00000, v[3:4], 0x3ca00000
	s_delay_alu instid0(VALU_DEP_1) | instskip(NEXT) | instid1(VALU_DEP_1)
	v_cvt_f32_f64_e32 v3, v[3:4]
	v_cmp_gt_f32_e32 vcc_lo, 0x800000, v3
	v_cndmask_b32_e64 v4, 1.0, 0x4f800000, vcc_lo
	s_delay_alu instid0(VALU_DEP_1) | instskip(NEXT) | instid1(VALU_DEP_1)
	v_mul_f32_e32 v3, v3, v4
	v_log_f32_e32 v3, v3
	s_waitcnt_depctr 0xfff
	v_mul_f32_e32 v4, 0x3f317217, v3
	s_delay_alu instid0(VALU_DEP_1) | instskip(NEXT) | instid1(VALU_DEP_1)
	v_fma_f32 v13, 0x3f317217, v3, -v4
	v_fmac_f32_e32 v13, 0x3377d1cf, v3
	s_delay_alu instid0(VALU_DEP_1) | instskip(SKIP_2) | instid1(VALU_DEP_3)
	v_add_f32_e32 v4, v4, v13
	v_cndmask_b32_e64 v13, 0, 0x41b17218, vcc_lo
	v_cmp_gt_f32_e64 vcc_lo, 0x7f800000, |v3|
	v_cndmask_b32_e32 v3, v3, v4, vcc_lo
	s_delay_alu instid0(VALU_DEP_1) | instskip(NEXT) | instid1(VALU_DEP_1)
	v_sub_f32_e32 v3, v3, v13
	v_div_scale_f32 v4, null, v35, v35, v3
	s_delay_alu instid0(VALU_DEP_1) | instskip(SKIP_2) | instid1(VALU_DEP_1)
	v_rcp_f32_e32 v13, v4
	s_waitcnt_depctr 0xfff
	v_fma_f32 v14, -v4, v13, 1.0
	v_fmac_f32_e32 v13, v14, v13
	v_div_scale_f32 v14, vcc_lo, v3, v35, v3
	s_delay_alu instid0(VALU_DEP_1) | instskip(NEXT) | instid1(VALU_DEP_1)
	v_mul_f32_e32 v40, v14, v13
	v_fma_f32 v41, -v4, v40, v14
	s_delay_alu instid0(VALU_DEP_1) | instskip(NEXT) | instid1(VALU_DEP_1)
	v_fmac_f32_e32 v40, v41, v13
	v_fma_f32 v4, -v4, v40, v14
	s_delay_alu instid0(VALU_DEP_1) | instskip(NEXT) | instid1(VALU_DEP_1)
	v_div_fmas_f32 v4, v4, v13, v40
	v_div_fixup_f32 v3, v4, v35, v3
	s_delay_alu instid0(VALU_DEP_1)
	v_ceil_f32_e32 v3, v3
	global_store_b32 v7, v3, s[12:13]
.LBB25_34:                              ;   in Loop: Header=BB25_9 Depth=1
	s_or_b32 exec_lo, exec_lo, s35
	v_add_co_u32 v13, vcc_lo, v10, s24
	v_add_co_ci_u32_e32 v14, vcc_lo, 0, v11, vcc_lo
	s_mov_b32 s35, exec_lo
	s_delay_alu instid0(VALU_DEP_1)
	v_cmpx_gt_i64_e64 s[16:17], v[13:14]
	s_cbranch_execz .LBB25_49
; %bb.35:                               ;   in Loop: Header=BB25_9 Depth=1
	s_and_not1_b32 vcc_lo, exec_lo, s11
	s_cbranch_vccnz .LBB25_41
; %bb.36:                               ;   in Loop: Header=BB25_9 Depth=1
	v_mov_b32_e32 v3, 0
	s_and_not1_b32 vcc_lo, exec_lo, s27
	s_cbranch_vccnz .LBB25_45
; %bb.37:                               ;   in Loop: Header=BB25_9 Depth=1
	s_and_not1_b32 vcc_lo, exec_lo, s30
	s_mov_b32 s20, 0
	s_cbranch_vccnz .LBB25_42
; %bb.38:                               ;   in Loop: Header=BB25_9 Depth=1
	v_dual_mov_b32 v3, 0 :: v_dual_mov_b32 v4, v13
	s_mov_b32 s36, 0
	s_mov_b64 s[20:21], s[18:19]
	s_mov_b64 s[22:23], s[0:1]
.LBB25_39:                              ;   Parent Loop BB25_9 Depth=1
                                        ; =>  This Inner Loop Header: Depth=2
	s_clause 0x1
	s_load_b256 s[40:47], s[20:21], 0x4
	s_load_b128 s[48:51], s[20:21], 0x24
	s_load_b128 s[52:55], s[22:23], 0x0
	s_add_u32 s20, s20, 48
	s_addc_u32 s21, s21, 0
	s_add_i32 s36, s36, 4
	s_add_u32 s22, s22, 16
	s_addc_u32 s23, s23, 0
	s_cmp_eq_u32 s31, s36
	s_waitcnt lgkmcnt(0)
	v_mul_hi_u32 v7, s41, v4
	s_delay_alu instid0(VALU_DEP_1) | instskip(NEXT) | instid1(VALU_DEP_1)
	v_add_nc_u32_e32 v7, v4, v7
	v_lshrrev_b32_e32 v7, s42, v7
	s_delay_alu instid0(VALU_DEP_1) | instskip(SKIP_1) | instid1(VALU_DEP_2)
	v_mul_hi_u32 v14, s44, v7
	v_mul_lo_u32 v42, v7, s40
	v_add_nc_u32_e32 v14, v7, v14
	s_delay_alu instid0(VALU_DEP_2) | instskip(NEXT) | instid1(VALU_DEP_2)
	v_sub_nc_u32_e32 v42, v4, v42
	v_lshrrev_b32_e32 v14, s45, v14
	s_delay_alu instid0(VALU_DEP_2) | instskip(NEXT) | instid1(VALU_DEP_2)
	v_mul_lo_u32 v42, v42, s52
	v_mul_hi_u32 v40, s47, v14
	v_mul_lo_u32 v43, v14, s43
	s_delay_alu instid0(VALU_DEP_2) | instskip(NEXT) | instid1(VALU_DEP_2)
	v_add_nc_u32_e32 v40, v14, v40
	v_sub_nc_u32_e32 v7, v7, v43
	s_delay_alu instid0(VALU_DEP_2) | instskip(NEXT) | instid1(VALU_DEP_2)
	v_lshrrev_b32_e32 v40, s48, v40
	v_mul_lo_u32 v7, v7, s53
	s_delay_alu instid0(VALU_DEP_2) | instskip(NEXT) | instid1(VALU_DEP_2)
	v_mul_hi_u32 v41, s50, v40
	v_add3_u32 v3, v42, v3, v7
	s_delay_alu instid0(VALU_DEP_2) | instskip(NEXT) | instid1(VALU_DEP_1)
	v_add_nc_u32_e32 v41, v40, v41
	v_lshrrev_b32_e32 v4, s51, v41
	v_mul_lo_u32 v41, v40, s46
	s_delay_alu instid0(VALU_DEP_2) | instskip(NEXT) | instid1(VALU_DEP_2)
	v_mul_lo_u32 v44, v4, s49
	v_sub_nc_u32_e32 v14, v14, v41
	s_delay_alu instid0(VALU_DEP_2) | instskip(NEXT) | instid1(VALU_DEP_2)
	v_sub_nc_u32_e32 v40, v40, v44
	v_mul_lo_u32 v14, v14, s54
	s_delay_alu instid0(VALU_DEP_2) | instskip(NEXT) | instid1(VALU_DEP_1)
	v_mul_lo_u32 v40, v40, s55
	v_add3_u32 v3, v14, v3, v40
	s_cbranch_scc0 .LBB25_39
; %bb.40:                               ;   in Loop: Header=BB25_9 Depth=1
	s_mov_b32 s20, s31
	s_and_not1_b32 vcc_lo, exec_lo, s34
	s_cbranch_vccz .LBB25_43
	s_branch .LBB25_45
.LBB25_41:                              ;   in Loop: Header=BB25_9 Depth=1
                                        ; implicit-def: $vgpr3
	s_branch .LBB25_46
.LBB25_42:                              ;   in Loop: Header=BB25_9 Depth=1
	v_mov_b32_e32 v4, v13
	s_and_not1_b32 vcc_lo, exec_lo, s34
	s_cbranch_vccnz .LBB25_45
.LBB25_43:                              ;   in Loop: Header=BB25_9 Depth=1
	s_lshl_b32 s21, s20, 2
	s_mul_i32 s22, s20, 12
	s_add_u32 s20, s0, s21
	s_addc_u32 s21, s1, 0
	s_add_u32 s22, s18, s22
	s_addc_u32 s23, s19, 0
	s_mov_b32 s36, s29
	.p2align	6
.LBB25_44:                              ;   Parent Loop BB25_9 Depth=1
                                        ; =>  This Inner Loop Header: Depth=2
	s_clause 0x1
	s_load_b64 s[38:39], s[22:23], 0x4
	s_load_b32 s37, s[22:23], 0xc
	s_add_u32 s22, s22, 12
	s_addc_u32 s23, s23, 0
	s_waitcnt lgkmcnt(0)
	v_mul_hi_u32 v7, s39, v4
	s_load_b32 s39, s[20:21], 0x0
	s_add_u32 s20, s20, 4
	s_addc_u32 s21, s21, 0
	s_add_i32 s36, s36, -1
	s_delay_alu instid0(SALU_CYCLE_1) | instskip(NEXT) | instid1(VALU_DEP_1)
	s_cmp_lg_u32 s36, 0
	v_add_nc_u32_e32 v7, v4, v7
	s_delay_alu instid0(VALU_DEP_1) | instskip(NEXT) | instid1(VALU_DEP_1)
	v_lshrrev_b32_e32 v7, s37, v7
	v_mul_lo_u32 v14, v7, s38
	s_delay_alu instid0(VALU_DEP_1) | instskip(SKIP_1) | instid1(VALU_DEP_1)
	v_sub_nc_u32_e32 v4, v4, v14
	s_waitcnt lgkmcnt(0)
	v_mad_u64_u32 v[40:41], null, v4, s39, v[3:4]
	s_delay_alu instid0(VALU_DEP_1)
	v_dual_mov_b32 v4, v7 :: v_dual_mov_b32 v3, v40
	s_cbranch_scc1 .LBB25_44
.LBB25_45:                              ;   in Loop: Header=BB25_9 Depth=1
	s_cbranch_execnz .LBB25_48
.LBB25_46:                              ;   in Loop: Header=BB25_9 Depth=1
	v_mul_hi_u32 v3, v13, s6
	s_and_not1_b32 vcc_lo, exec_lo, s4
	s_delay_alu instid0(VALU_DEP_1) | instskip(NEXT) | instid1(VALU_DEP_1)
	v_add_nc_u32_e32 v3, v3, v13
	v_lshrrev_b32_e32 v4, s7, v3
	s_delay_alu instid0(VALU_DEP_1) | instskip(NEXT) | instid1(VALU_DEP_1)
	v_mul_lo_u32 v3, v4, s5
	v_sub_nc_u32_e32 v3, v13, v3
	s_delay_alu instid0(VALU_DEP_1)
	v_mul_lo_u32 v3, v3, s14
	s_cbranch_vccnz .LBB25_48
; %bb.47:                               ;   in Loop: Header=BB25_9 Depth=1
	v_mul_hi_u32 v7, s9, v4
	s_delay_alu instid0(VALU_DEP_1) | instskip(NEXT) | instid1(VALU_DEP_1)
	v_add_nc_u32_e32 v7, v4, v7
	v_lshrrev_b32_e32 v7, s10, v7
	s_delay_alu instid0(VALU_DEP_1) | instskip(NEXT) | instid1(VALU_DEP_1)
	v_mul_lo_u32 v7, v7, s8
	v_sub_nc_u32_e32 v4, v4, v7
	s_delay_alu instid0(VALU_DEP_1) | instskip(NEXT) | instid1(VALU_DEP_1)
	v_mad_u64_u32 v[13:14], null, v4, s15, v[3:4]
	v_mov_b32_e32 v3, v13
.LBB25_48:                              ;   in Loop: Header=BB25_9 Depth=1
	v_lshrrev_b32_e32 v4, 11, v6
	s_delay_alu instid0(VALU_DEP_1) | instskip(SKIP_1) | instid1(VALU_DEP_2)
	v_cvt_f64_u32_e32 v[6:7], v4
	v_cvt_f64_u32_e32 v[4:5], v5
	v_ldexp_f64 v[6:7], v[6:7], 32
	s_delay_alu instid0(VALU_DEP_1) | instskip(NEXT) | instid1(VALU_DEP_1)
	v_add_f64 v[4:5], v[6:7], v[4:5]
	v_fma_f64 v[4:5], 0x3ca00000, v[4:5], 0x3ca00000
	s_delay_alu instid0(VALU_DEP_1) | instskip(NEXT) | instid1(VALU_DEP_1)
	v_cvt_f32_f64_e32 v4, v[4:5]
	v_cmp_gt_f32_e32 vcc_lo, 0x800000, v4
	v_cndmask_b32_e64 v5, 1.0, 0x4f800000, vcc_lo
	s_delay_alu instid0(VALU_DEP_1) | instskip(NEXT) | instid1(VALU_DEP_1)
	v_mul_f32_e32 v4, v4, v5
	v_log_f32_e32 v4, v4
	s_waitcnt_depctr 0xfff
	v_mul_f32_e32 v5, 0x3f317217, v4
	s_delay_alu instid0(VALU_DEP_1) | instskip(NEXT) | instid1(VALU_DEP_1)
	v_fma_f32 v6, 0x3f317217, v4, -v5
	v_fmac_f32_e32 v6, 0x3377d1cf, v4
	s_delay_alu instid0(VALU_DEP_1) | instskip(SKIP_2) | instid1(VALU_DEP_3)
	v_add_f32_e32 v5, v5, v6
	v_cndmask_b32_e64 v6, 0, 0x41b17218, vcc_lo
	v_cmp_gt_f32_e64 vcc_lo, 0x7f800000, |v4|
	v_cndmask_b32_e32 v4, v4, v5, vcc_lo
	s_delay_alu instid0(VALU_DEP_1) | instskip(NEXT) | instid1(VALU_DEP_1)
	v_sub_f32_e32 v4, v4, v6
	v_div_scale_f32 v5, null, v35, v35, v4
	s_delay_alu instid0(VALU_DEP_1) | instskip(SKIP_2) | instid1(VALU_DEP_1)
	v_rcp_f32_e32 v6, v5
	s_waitcnt_depctr 0xfff
	v_fma_f32 v7, -v5, v6, 1.0
	v_fmac_f32_e32 v6, v7, v6
	v_div_scale_f32 v7, vcc_lo, v4, v35, v4
	s_delay_alu instid0(VALU_DEP_1) | instskip(NEXT) | instid1(VALU_DEP_1)
	v_mul_f32_e32 v13, v7, v6
	v_fma_f32 v14, -v5, v13, v7
	s_delay_alu instid0(VALU_DEP_1) | instskip(NEXT) | instid1(VALU_DEP_1)
	v_fmac_f32_e32 v13, v14, v6
	v_fma_f32 v5, -v5, v13, v7
	s_delay_alu instid0(VALU_DEP_1) | instskip(NEXT) | instid1(VALU_DEP_1)
	v_div_fmas_f32 v5, v5, v6, v13
	v_div_fixup_f32 v4, v5, v35, v4
	s_delay_alu instid0(VALU_DEP_1)
	v_ceil_f32_e32 v4, v4
	global_store_b32 v3, v4, s[12:13]
.LBB25_49:                              ;   in Loop: Header=BB25_9 Depth=1
	s_or_b32 exec_lo, exec_lo, s35
	v_add_co_u32 v3, vcc_lo, v10, s28
	v_add_co_ci_u32_e32 v4, vcc_lo, 0, v11, vcc_lo
	s_mov_b32 s35, exec_lo
	s_delay_alu instid0(VALU_DEP_1)
	v_cmpx_gt_i64_e64 s[16:17], v[3:4]
	s_cbranch_execz .LBB25_64
; %bb.50:                               ;   in Loop: Header=BB25_9 Depth=1
	s_and_not1_b32 vcc_lo, exec_lo, s11
	s_cbranch_vccnz .LBB25_56
; %bb.51:                               ;   in Loop: Header=BB25_9 Depth=1
	v_mov_b32_e32 v4, 0
	s_and_not1_b32 vcc_lo, exec_lo, s27
	s_cbranch_vccnz .LBB25_60
; %bb.52:                               ;   in Loop: Header=BB25_9 Depth=1
	s_and_not1_b32 vcc_lo, exec_lo, s30
	s_mov_b32 s20, 0
	s_cbranch_vccnz .LBB25_57
; %bb.53:                               ;   in Loop: Header=BB25_9 Depth=1
	v_dual_mov_b32 v4, 0 :: v_dual_mov_b32 v5, v3
	s_mov_b32 s36, 0
	s_mov_b64 s[20:21], s[18:19]
	s_mov_b64 s[22:23], s[0:1]
.LBB25_54:                              ;   Parent Loop BB25_9 Depth=1
                                        ; =>  This Inner Loop Header: Depth=2
	s_clause 0x1
	s_load_b256 s[40:47], s[20:21], 0x4
	s_load_b128 s[48:51], s[20:21], 0x24
	s_load_b128 s[52:55], s[22:23], 0x0
	s_add_u32 s20, s20, 48
	s_addc_u32 s21, s21, 0
	s_add_i32 s36, s36, 4
	s_add_u32 s22, s22, 16
	s_addc_u32 s23, s23, 0
	s_cmp_eq_u32 s31, s36
	s_waitcnt lgkmcnt(0)
	v_mul_hi_u32 v6, s41, v5
	s_delay_alu instid0(VALU_DEP_1) | instskip(NEXT) | instid1(VALU_DEP_1)
	v_add_nc_u32_e32 v6, v5, v6
	v_lshrrev_b32_e32 v6, s42, v6
	s_delay_alu instid0(VALU_DEP_1) | instskip(SKIP_1) | instid1(VALU_DEP_2)
	v_mul_hi_u32 v7, s44, v6
	v_mul_lo_u32 v40, v6, s40
	v_add_nc_u32_e32 v7, v6, v7
	s_delay_alu instid0(VALU_DEP_2) | instskip(NEXT) | instid1(VALU_DEP_2)
	v_sub_nc_u32_e32 v40, v5, v40
	v_lshrrev_b32_e32 v7, s45, v7
	s_delay_alu instid0(VALU_DEP_2) | instskip(NEXT) | instid1(VALU_DEP_2)
	v_mul_lo_u32 v40, v40, s52
	v_mul_hi_u32 v13, s47, v7
	v_mul_lo_u32 v41, v7, s43
	s_delay_alu instid0(VALU_DEP_2) | instskip(NEXT) | instid1(VALU_DEP_2)
	v_add_nc_u32_e32 v13, v7, v13
	v_sub_nc_u32_e32 v6, v6, v41
	s_delay_alu instid0(VALU_DEP_2) | instskip(NEXT) | instid1(VALU_DEP_2)
	v_lshrrev_b32_e32 v13, s48, v13
	v_mul_lo_u32 v6, v6, s53
	s_delay_alu instid0(VALU_DEP_2) | instskip(NEXT) | instid1(VALU_DEP_2)
	v_mul_hi_u32 v14, s50, v13
	v_add3_u32 v4, v40, v4, v6
	s_delay_alu instid0(VALU_DEP_2) | instskip(NEXT) | instid1(VALU_DEP_1)
	v_add_nc_u32_e32 v14, v13, v14
	v_lshrrev_b32_e32 v5, s51, v14
	v_mul_lo_u32 v14, v13, s46
	s_delay_alu instid0(VALU_DEP_2) | instskip(NEXT) | instid1(VALU_DEP_2)
	v_mul_lo_u32 v42, v5, s49
	v_sub_nc_u32_e32 v7, v7, v14
	s_delay_alu instid0(VALU_DEP_2) | instskip(NEXT) | instid1(VALU_DEP_2)
	v_sub_nc_u32_e32 v13, v13, v42
	v_mul_lo_u32 v7, v7, s54
	s_delay_alu instid0(VALU_DEP_2) | instskip(NEXT) | instid1(VALU_DEP_1)
	v_mul_lo_u32 v13, v13, s55
	v_add3_u32 v4, v7, v4, v13
	s_cbranch_scc0 .LBB25_54
; %bb.55:                               ;   in Loop: Header=BB25_9 Depth=1
	s_mov_b32 s20, s31
	s_and_not1_b32 vcc_lo, exec_lo, s34
	s_cbranch_vccz .LBB25_58
	s_branch .LBB25_60
.LBB25_56:                              ;   in Loop: Header=BB25_9 Depth=1
                                        ; implicit-def: $vgpr4
	s_branch .LBB25_61
.LBB25_57:                              ;   in Loop: Header=BB25_9 Depth=1
	v_mov_b32_e32 v5, v3
	s_and_not1_b32 vcc_lo, exec_lo, s34
	s_cbranch_vccnz .LBB25_60
.LBB25_58:                              ;   in Loop: Header=BB25_9 Depth=1
	s_lshl_b32 s21, s20, 2
	s_mul_i32 s22, s20, 12
	s_add_u32 s20, s0, s21
	s_addc_u32 s21, s1, 0
	s_add_u32 s22, s18, s22
	s_addc_u32 s23, s19, 0
	s_mov_b32 s36, s29
	.p2align	6
.LBB25_59:                              ;   Parent Loop BB25_9 Depth=1
                                        ; =>  This Inner Loop Header: Depth=2
	s_clause 0x1
	s_load_b64 s[38:39], s[22:23], 0x4
	s_load_b32 s37, s[22:23], 0xc
	s_add_u32 s22, s22, 12
	s_addc_u32 s23, s23, 0
	s_waitcnt lgkmcnt(0)
	v_mul_hi_u32 v6, s39, v5
	s_load_b32 s39, s[20:21], 0x0
	s_add_u32 s20, s20, 4
	s_addc_u32 s21, s21, 0
	s_add_i32 s36, s36, -1
	s_delay_alu instid0(SALU_CYCLE_1) | instskip(NEXT) | instid1(VALU_DEP_1)
	s_cmp_lg_u32 s36, 0
	v_add_nc_u32_e32 v6, v5, v6
	s_delay_alu instid0(VALU_DEP_1) | instskip(NEXT) | instid1(VALU_DEP_1)
	v_lshrrev_b32_e32 v13, s37, v6
	v_mul_lo_u32 v6, v13, s38
	s_delay_alu instid0(VALU_DEP_1) | instskip(SKIP_1) | instid1(VALU_DEP_1)
	v_sub_nc_u32_e32 v5, v5, v6
	s_waitcnt lgkmcnt(0)
	v_mad_u64_u32 v[6:7], null, v5, s39, v[4:5]
	s_delay_alu instid0(VALU_DEP_1)
	v_dual_mov_b32 v5, v13 :: v_dual_mov_b32 v4, v6
	s_cbranch_scc1 .LBB25_59
.LBB25_60:                              ;   in Loop: Header=BB25_9 Depth=1
	s_cbranch_execnz .LBB25_63
.LBB25_61:                              ;   in Loop: Header=BB25_9 Depth=1
	v_mul_hi_u32 v4, v3, s6
	s_and_not1_b32 vcc_lo, exec_lo, s4
	s_delay_alu instid0(VALU_DEP_1) | instskip(NEXT) | instid1(VALU_DEP_1)
	v_add_nc_u32_e32 v4, v4, v3
	v_lshrrev_b32_e32 v5, s7, v4
	s_delay_alu instid0(VALU_DEP_1) | instskip(NEXT) | instid1(VALU_DEP_1)
	v_mul_lo_u32 v4, v5, s5
	v_sub_nc_u32_e32 v3, v3, v4
	s_delay_alu instid0(VALU_DEP_1)
	v_mul_lo_u32 v4, v3, s14
	s_cbranch_vccnz .LBB25_63
; %bb.62:                               ;   in Loop: Header=BB25_9 Depth=1
	v_mul_hi_u32 v3, s9, v5
	s_delay_alu instid0(VALU_DEP_1) | instskip(NEXT) | instid1(VALU_DEP_1)
	v_add_nc_u32_e32 v3, v5, v3
	v_lshrrev_b32_e32 v3, s10, v3
	s_delay_alu instid0(VALU_DEP_1) | instskip(NEXT) | instid1(VALU_DEP_1)
	v_mul_lo_u32 v3, v3, s8
	v_sub_nc_u32_e32 v3, v5, v3
	s_delay_alu instid0(VALU_DEP_1) | instskip(NEXT) | instid1(VALU_DEP_1)
	v_mad_u64_u32 v[5:6], null, v3, s15, v[4:5]
	v_mov_b32_e32 v4, v5
.LBB25_63:                              ;   in Loop: Header=BB25_9 Depth=1
	global_store_b32 v4, v38, s[12:13]
.LBB25_64:                              ;   in Loop: Header=BB25_9 Depth=1
	s_or_b32 exec_lo, exec_lo, s35
	v_add_co_u32 v3, vcc_lo, v10, s33
	v_add_co_ci_u32_e32 v4, vcc_lo, 0, v11, vcc_lo
	s_mov_b32 s35, exec_lo
	s_delay_alu instid0(VALU_DEP_1)
	v_cmpx_gt_i64_e64 s[16:17], v[3:4]
	s_cbranch_execz .LBB25_8
; %bb.65:                               ;   in Loop: Header=BB25_9 Depth=1
	s_and_not1_b32 vcc_lo, exec_lo, s11
	s_cbranch_vccnz .LBB25_71
; %bb.66:                               ;   in Loop: Header=BB25_9 Depth=1
	v_mov_b32_e32 v4, 0
	s_and_not1_b32 vcc_lo, exec_lo, s27
	s_cbranch_vccnz .LBB25_75
; %bb.67:                               ;   in Loop: Header=BB25_9 Depth=1
	s_and_not1_b32 vcc_lo, exec_lo, s30
	s_mov_b32 s20, 0
	s_cbranch_vccnz .LBB25_72
; %bb.68:                               ;   in Loop: Header=BB25_9 Depth=1
	v_dual_mov_b32 v4, 0 :: v_dual_mov_b32 v5, v3
	s_mov_b32 s36, 0
	s_mov_b64 s[20:21], s[18:19]
	s_mov_b64 s[22:23], s[0:1]
.LBB25_69:                              ;   Parent Loop BB25_9 Depth=1
                                        ; =>  This Inner Loop Header: Depth=2
	s_clause 0x1
	s_load_b256 s[40:47], s[20:21], 0x4
	s_load_b128 s[48:51], s[20:21], 0x24
	s_load_b128 s[52:55], s[22:23], 0x0
	s_add_u32 s20, s20, 48
	s_addc_u32 s21, s21, 0
	s_add_i32 s36, s36, 4
	s_add_u32 s22, s22, 16
	s_addc_u32 s23, s23, 0
	s_cmp_eq_u32 s31, s36
	s_waitcnt lgkmcnt(0)
	v_mul_hi_u32 v6, s41, v5
	s_delay_alu instid0(VALU_DEP_1) | instskip(NEXT) | instid1(VALU_DEP_1)
	v_add_nc_u32_e32 v6, v5, v6
	v_lshrrev_b32_e32 v6, s42, v6
	s_delay_alu instid0(VALU_DEP_1) | instskip(SKIP_1) | instid1(VALU_DEP_2)
	v_mul_hi_u32 v7, s44, v6
	v_mul_lo_u32 v40, v6, s40
	v_add_nc_u32_e32 v7, v6, v7
	s_delay_alu instid0(VALU_DEP_2) | instskip(NEXT) | instid1(VALU_DEP_2)
	v_sub_nc_u32_e32 v40, v5, v40
	v_lshrrev_b32_e32 v7, s45, v7
	s_delay_alu instid0(VALU_DEP_2) | instskip(NEXT) | instid1(VALU_DEP_2)
	v_mul_lo_u32 v40, v40, s52
	v_mul_hi_u32 v13, s47, v7
	v_mul_lo_u32 v41, v7, s43
	s_delay_alu instid0(VALU_DEP_2) | instskip(NEXT) | instid1(VALU_DEP_2)
	v_add_nc_u32_e32 v13, v7, v13
	v_sub_nc_u32_e32 v6, v6, v41
	s_delay_alu instid0(VALU_DEP_2) | instskip(NEXT) | instid1(VALU_DEP_2)
	v_lshrrev_b32_e32 v13, s48, v13
	v_mul_lo_u32 v6, v6, s53
	s_delay_alu instid0(VALU_DEP_2) | instskip(NEXT) | instid1(VALU_DEP_2)
	v_mul_hi_u32 v14, s50, v13
	v_add3_u32 v4, v40, v4, v6
	s_delay_alu instid0(VALU_DEP_2) | instskip(NEXT) | instid1(VALU_DEP_1)
	v_add_nc_u32_e32 v14, v13, v14
	v_lshrrev_b32_e32 v5, s51, v14
	v_mul_lo_u32 v14, v13, s46
	s_delay_alu instid0(VALU_DEP_2) | instskip(NEXT) | instid1(VALU_DEP_2)
	v_mul_lo_u32 v42, v5, s49
	v_sub_nc_u32_e32 v7, v7, v14
	s_delay_alu instid0(VALU_DEP_2) | instskip(NEXT) | instid1(VALU_DEP_2)
	v_sub_nc_u32_e32 v13, v13, v42
	v_mul_lo_u32 v7, v7, s54
	s_delay_alu instid0(VALU_DEP_2) | instskip(NEXT) | instid1(VALU_DEP_1)
	v_mul_lo_u32 v13, v13, s55
	v_add3_u32 v4, v7, v4, v13
	s_cbranch_scc0 .LBB25_69
; %bb.70:                               ;   in Loop: Header=BB25_9 Depth=1
	s_mov_b32 s20, s31
	s_and_not1_b32 vcc_lo, exec_lo, s34
	s_cbranch_vccz .LBB25_73
	s_branch .LBB25_75
.LBB25_71:                              ;   in Loop: Header=BB25_9 Depth=1
                                        ; implicit-def: $vgpr4
	s_branch .LBB25_76
.LBB25_72:                              ;   in Loop: Header=BB25_9 Depth=1
	v_mov_b32_e32 v5, v3
	s_and_not1_b32 vcc_lo, exec_lo, s34
	s_cbranch_vccnz .LBB25_75
.LBB25_73:                              ;   in Loop: Header=BB25_9 Depth=1
	s_lshl_b32 s21, s20, 2
	s_mul_i32 s22, s20, 12
	s_add_u32 s20, s0, s21
	s_addc_u32 s21, s1, 0
	s_add_u32 s22, s18, s22
	s_addc_u32 s23, s19, 0
	s_mov_b32 s36, s29
	.p2align	6
.LBB25_74:                              ;   Parent Loop BB25_9 Depth=1
                                        ; =>  This Inner Loop Header: Depth=2
	s_clause 0x1
	s_load_b64 s[38:39], s[22:23], 0x4
	s_load_b32 s37, s[22:23], 0xc
	s_add_u32 s22, s22, 12
	s_addc_u32 s23, s23, 0
	s_waitcnt lgkmcnt(0)
	v_mul_hi_u32 v6, s39, v5
	s_load_b32 s39, s[20:21], 0x0
	s_add_u32 s20, s20, 4
	s_addc_u32 s21, s21, 0
	s_add_i32 s36, s36, -1
	s_delay_alu instid0(SALU_CYCLE_1) | instskip(NEXT) | instid1(VALU_DEP_1)
	s_cmp_lg_u32 s36, 0
	v_add_nc_u32_e32 v6, v5, v6
	s_delay_alu instid0(VALU_DEP_1) | instskip(NEXT) | instid1(VALU_DEP_1)
	v_lshrrev_b32_e32 v13, s37, v6
	v_mul_lo_u32 v6, v13, s38
	s_delay_alu instid0(VALU_DEP_1) | instskip(SKIP_1) | instid1(VALU_DEP_1)
	v_sub_nc_u32_e32 v5, v5, v6
	s_waitcnt lgkmcnt(0)
	v_mad_u64_u32 v[6:7], null, v5, s39, v[4:5]
	s_delay_alu instid0(VALU_DEP_1)
	v_dual_mov_b32 v5, v13 :: v_dual_mov_b32 v4, v6
	s_cbranch_scc1 .LBB25_74
.LBB25_75:                              ;   in Loop: Header=BB25_9 Depth=1
	s_cbranch_execnz .LBB25_7
.LBB25_76:                              ;   in Loop: Header=BB25_9 Depth=1
	v_mul_hi_u32 v4, v3, s6
	s_and_not1_b32 vcc_lo, exec_lo, s4
	s_delay_alu instid0(VALU_DEP_1) | instskip(NEXT) | instid1(VALU_DEP_1)
	v_add_nc_u32_e32 v4, v4, v3
	v_lshrrev_b32_e32 v5, s7, v4
	s_delay_alu instid0(VALU_DEP_1) | instskip(NEXT) | instid1(VALU_DEP_1)
	v_mul_lo_u32 v4, v5, s5
	v_sub_nc_u32_e32 v3, v3, v4
	s_delay_alu instid0(VALU_DEP_1)
	v_mul_lo_u32 v4, v3, s14
	s_cbranch_vccnz .LBB25_7
; %bb.77:                               ;   in Loop: Header=BB25_9 Depth=1
	v_mul_hi_u32 v3, s9, v5
	s_delay_alu instid0(VALU_DEP_1) | instskip(NEXT) | instid1(VALU_DEP_1)
	v_add_nc_u32_e32 v3, v5, v3
	v_lshrrev_b32_e32 v3, s10, v3
	s_delay_alu instid0(VALU_DEP_1) | instskip(NEXT) | instid1(VALU_DEP_1)
	v_mul_lo_u32 v3, v3, s8
	v_sub_nc_u32_e32 v3, v5, v3
	s_delay_alu instid0(VALU_DEP_1) | instskip(NEXT) | instid1(VALU_DEP_1)
	v_mad_u64_u32 v[5:6], null, v3, s15, v[4:5]
	v_mov_b32_e32 v4, v5
	s_branch .LBB25_7
.LBB25_78:
	s_endpgm
.LBB25_79:
                                        ; implicit-def: $sgpr2_sgpr3
	s_branch .LBB25_4
	.section	.rodata,"a",@progbits
	.p2align	6, 0x0
	.amdhsa_kernel _ZN2at6native12_GLOBAL__N_143distribution_elementwise_grid_stride_kernelIfLi4EZNS0_9templates4cuda21uniform_and_transformIffPNS_17CUDAGeneratorImplEZZZNS4_16geometric_kernelIS7_EEvRNS_18TensorIteratorBaseEdT_ENKUlvE_clEvENKUlvE5_clEvEUlfE_EEvSA_T1_T2_EUlP25hiprandStatePhilox4_32_10E_ZNS1_27distribution_nullary_kernelIff15HIP_vector_typeIdLj2EES7_SJ_SE_EEvSA_SG_RKT3_T4_EUlifE0_EEvlNS_15PhiloxCudaStateESF_SG_
		.amdhsa_group_segment_fixed_size 0
		.amdhsa_private_segment_fixed_size 0
		.amdhsa_kernarg_size 584
		.amdhsa_user_sgpr_count 15
		.amdhsa_user_sgpr_dispatch_ptr 0
		.amdhsa_user_sgpr_queue_ptr 0
		.amdhsa_user_sgpr_kernarg_segment_ptr 1
		.amdhsa_user_sgpr_dispatch_id 0
		.amdhsa_user_sgpr_private_segment_size 0
		.amdhsa_wavefront_size32 1
		.amdhsa_uses_dynamic_stack 0
		.amdhsa_enable_private_segment 0
		.amdhsa_system_sgpr_workgroup_id_x 1
		.amdhsa_system_sgpr_workgroup_id_y 0
		.amdhsa_system_sgpr_workgroup_id_z 0
		.amdhsa_system_sgpr_workgroup_info 0
		.amdhsa_system_vgpr_workitem_id 0
		.amdhsa_next_free_vgpr 46
		.amdhsa_next_free_sgpr 56
		.amdhsa_reserve_vcc 1
		.amdhsa_float_round_mode_32 0
		.amdhsa_float_round_mode_16_64 0
		.amdhsa_float_denorm_mode_32 3
		.amdhsa_float_denorm_mode_16_64 3
		.amdhsa_dx10_clamp 1
		.amdhsa_ieee_mode 1
		.amdhsa_fp16_overflow 0
		.amdhsa_workgroup_processor_mode 1
		.amdhsa_memory_ordered 1
		.amdhsa_forward_progress 0
		.amdhsa_shared_vgpr_count 0
		.amdhsa_exception_fp_ieee_invalid_op 0
		.amdhsa_exception_fp_denorm_src 0
		.amdhsa_exception_fp_ieee_div_zero 0
		.amdhsa_exception_fp_ieee_overflow 0
		.amdhsa_exception_fp_ieee_underflow 0
		.amdhsa_exception_fp_ieee_inexact 0
		.amdhsa_exception_int_div_zero 0
	.end_amdhsa_kernel
	.section	.text._ZN2at6native12_GLOBAL__N_143distribution_elementwise_grid_stride_kernelIfLi4EZNS0_9templates4cuda21uniform_and_transformIffPNS_17CUDAGeneratorImplEZZZNS4_16geometric_kernelIS7_EEvRNS_18TensorIteratorBaseEdT_ENKUlvE_clEvENKUlvE5_clEvEUlfE_EEvSA_T1_T2_EUlP25hiprandStatePhilox4_32_10E_ZNS1_27distribution_nullary_kernelIff15HIP_vector_typeIdLj2EES7_SJ_SE_EEvSA_SG_RKT3_T4_EUlifE0_EEvlNS_15PhiloxCudaStateESF_SG_,"axG",@progbits,_ZN2at6native12_GLOBAL__N_143distribution_elementwise_grid_stride_kernelIfLi4EZNS0_9templates4cuda21uniform_and_transformIffPNS_17CUDAGeneratorImplEZZZNS4_16geometric_kernelIS7_EEvRNS_18TensorIteratorBaseEdT_ENKUlvE_clEvENKUlvE5_clEvEUlfE_EEvSA_T1_T2_EUlP25hiprandStatePhilox4_32_10E_ZNS1_27distribution_nullary_kernelIff15HIP_vector_typeIdLj2EES7_SJ_SE_EEvSA_SG_RKT3_T4_EUlifE0_EEvlNS_15PhiloxCudaStateESF_SG_,comdat
.Lfunc_end25:
	.size	_ZN2at6native12_GLOBAL__N_143distribution_elementwise_grid_stride_kernelIfLi4EZNS0_9templates4cuda21uniform_and_transformIffPNS_17CUDAGeneratorImplEZZZNS4_16geometric_kernelIS7_EEvRNS_18TensorIteratorBaseEdT_ENKUlvE_clEvENKUlvE5_clEvEUlfE_EEvSA_T1_T2_EUlP25hiprandStatePhilox4_32_10E_ZNS1_27distribution_nullary_kernelIff15HIP_vector_typeIdLj2EES7_SJ_SE_EEvSA_SG_RKT3_T4_EUlifE0_EEvlNS_15PhiloxCudaStateESF_SG_, .Lfunc_end25-_ZN2at6native12_GLOBAL__N_143distribution_elementwise_grid_stride_kernelIfLi4EZNS0_9templates4cuda21uniform_and_transformIffPNS_17CUDAGeneratorImplEZZZNS4_16geometric_kernelIS7_EEvRNS_18TensorIteratorBaseEdT_ENKUlvE_clEvENKUlvE5_clEvEUlfE_EEvSA_T1_T2_EUlP25hiprandStatePhilox4_32_10E_ZNS1_27distribution_nullary_kernelIff15HIP_vector_typeIdLj2EES7_SJ_SE_EEvSA_SG_RKT3_T4_EUlifE0_EEvlNS_15PhiloxCudaStateESF_SG_
                                        ; -- End function
	.section	.AMDGPU.csdata,"",@progbits
; Kernel info:
; codeLenInByte = 6492
; NumSgprs: 58
; NumVgprs: 46
; ScratchSize: 0
; MemoryBound: 0
; FloatMode: 240
; IeeeMode: 1
; LDSByteSize: 0 bytes/workgroup (compile time only)
; SGPRBlocks: 7
; VGPRBlocks: 5
; NumSGPRsForWavesPerEU: 58
; NumVGPRsForWavesPerEU: 46
; Occupancy: 16
; WaveLimiterHint : 1
; COMPUTE_PGM_RSRC2:SCRATCH_EN: 0
; COMPUTE_PGM_RSRC2:USER_SGPR: 15
; COMPUTE_PGM_RSRC2:TRAP_HANDLER: 0
; COMPUTE_PGM_RSRC2:TGID_X_EN: 1
; COMPUTE_PGM_RSRC2:TGID_Y_EN: 0
; COMPUTE_PGM_RSRC2:TGID_Z_EN: 0
; COMPUTE_PGM_RSRC2:TIDIG_COMP_CNT: 0
	.section	.text._ZN2at6native12_GLOBAL__N_143distribution_elementwise_grid_stride_kernelIfLi4EZNS0_9templates4cuda21uniform_and_transformIffPNS_17CUDAGeneratorImplEZZZNS4_16geometric_kernelIS7_EEvRNS_18TensorIteratorBaseEdT_ENKUlvE_clEvENKUlvE5_clEvEUlfE_EEvSA_T1_T2_EUlP25hiprandStatePhilox4_32_10E0_ZNS1_27distribution_nullary_kernelIff15HIP_vector_typeIfLj4EES7_SJ_SE_EEvSA_SG_RKT3_T4_EUlifE_EEvlNS_15PhiloxCudaStateESF_SG_,"axG",@progbits,_ZN2at6native12_GLOBAL__N_143distribution_elementwise_grid_stride_kernelIfLi4EZNS0_9templates4cuda21uniform_and_transformIffPNS_17CUDAGeneratorImplEZZZNS4_16geometric_kernelIS7_EEvRNS_18TensorIteratorBaseEdT_ENKUlvE_clEvENKUlvE5_clEvEUlfE_EEvSA_T1_T2_EUlP25hiprandStatePhilox4_32_10E0_ZNS1_27distribution_nullary_kernelIff15HIP_vector_typeIfLj4EES7_SJ_SE_EEvSA_SG_RKT3_T4_EUlifE_EEvlNS_15PhiloxCudaStateESF_SG_,comdat
	.globl	_ZN2at6native12_GLOBAL__N_143distribution_elementwise_grid_stride_kernelIfLi4EZNS0_9templates4cuda21uniform_and_transformIffPNS_17CUDAGeneratorImplEZZZNS4_16geometric_kernelIS7_EEvRNS_18TensorIteratorBaseEdT_ENKUlvE_clEvENKUlvE5_clEvEUlfE_EEvSA_T1_T2_EUlP25hiprandStatePhilox4_32_10E0_ZNS1_27distribution_nullary_kernelIff15HIP_vector_typeIfLj4EES7_SJ_SE_EEvSA_SG_RKT3_T4_EUlifE_EEvlNS_15PhiloxCudaStateESF_SG_ ; -- Begin function _ZN2at6native12_GLOBAL__N_143distribution_elementwise_grid_stride_kernelIfLi4EZNS0_9templates4cuda21uniform_and_transformIffPNS_17CUDAGeneratorImplEZZZNS4_16geometric_kernelIS7_EEvRNS_18TensorIteratorBaseEdT_ENKUlvE_clEvENKUlvE5_clEvEUlfE_EEvSA_T1_T2_EUlP25hiprandStatePhilox4_32_10E0_ZNS1_27distribution_nullary_kernelIff15HIP_vector_typeIfLj4EES7_SJ_SE_EEvSA_SG_RKT3_T4_EUlifE_EEvlNS_15PhiloxCudaStateESF_SG_
	.p2align	8
	.type	_ZN2at6native12_GLOBAL__N_143distribution_elementwise_grid_stride_kernelIfLi4EZNS0_9templates4cuda21uniform_and_transformIffPNS_17CUDAGeneratorImplEZZZNS4_16geometric_kernelIS7_EEvRNS_18TensorIteratorBaseEdT_ENKUlvE_clEvENKUlvE5_clEvEUlfE_EEvSA_T1_T2_EUlP25hiprandStatePhilox4_32_10E0_ZNS1_27distribution_nullary_kernelIff15HIP_vector_typeIfLj4EES7_SJ_SE_EEvSA_SG_RKT3_T4_EUlifE_EEvlNS_15PhiloxCudaStateESF_SG_,@function
_ZN2at6native12_GLOBAL__N_143distribution_elementwise_grid_stride_kernelIfLi4EZNS0_9templates4cuda21uniform_and_transformIffPNS_17CUDAGeneratorImplEZZZNS4_16geometric_kernelIS7_EEvRNS_18TensorIteratorBaseEdT_ENKUlvE_clEvENKUlvE5_clEvEUlfE_EEvSA_T1_T2_EUlP25hiprandStatePhilox4_32_10E0_ZNS1_27distribution_nullary_kernelIff15HIP_vector_typeIfLj4EES7_SJ_SE_EEvSA_SG_RKT3_T4_EUlifE_EEvlNS_15PhiloxCudaStateESF_SG_: ; @_ZN2at6native12_GLOBAL__N_143distribution_elementwise_grid_stride_kernelIfLi4EZNS0_9templates4cuda21uniform_and_transformIffPNS_17CUDAGeneratorImplEZZZNS4_16geometric_kernelIS7_EEvRNS_18TensorIteratorBaseEdT_ENKUlvE_clEvENKUlvE5_clEvEUlfE_EEvSA_T1_T2_EUlP25hiprandStatePhilox4_32_10E0_ZNS1_27distribution_nullary_kernelIff15HIP_vector_typeIfLj4EES7_SJ_SE_EEvSA_SG_RKT3_T4_EUlifE_EEvlNS_15PhiloxCudaStateESF_SG_
; %bb.0:
	s_clause 0x2
	s_load_b64 s[8:9], s[0:1], 0x10
	s_load_b128 s[4:7], s[0:1], 0x0
	s_load_b32 s2, s[0:1], 0x20
	s_waitcnt lgkmcnt(0)
	v_dual_mov_b32 v2, s8 :: v_dual_mov_b32 v3, s9
	v_dual_mov_b32 v12, s7 :: v_dual_mov_b32 v11, s6
	s_bitcmp0_b32 s2, 0
	s_mov_b32 s2, 0
	s_cbranch_scc1 .LBB26_2
; %bb.1:
	v_dual_mov_b32 v1, s8 :: v_dual_mov_b32 v2, s9
	v_dual_mov_b32 v4, s6 :: v_dual_mov_b32 v5, s7
	s_load_b64 s[6:7], s[0:1], 0x18
	flat_load_b64 v[2:3], v[1:2]
	flat_load_b64 v[11:12], v[4:5]
	s_waitcnt vmcnt(1) lgkmcnt(0)
	v_add_co_u32 v2, vcc_lo, v2, s6
	v_add_co_ci_u32_e32 v3, vcc_lo, s7, v3, vcc_lo
.LBB26_2:
	s_clause 0x1
	s_load_b32 s3, s[0:1], 0x54
	s_load_b32 s11, s[0:1], 0x48
	s_waitcnt lgkmcnt(0)
	s_and_b32 s10, s3, 0xffff
	s_add_u32 s6, s4, -1
	s_mul_i32 s8, s11, s10
	s_addc_u32 s3, s5, -1
	s_lshl_b32 s9, s8, 2
	s_cmp_lg_u64 s[2:3], 0
	s_cbranch_scc0 .LBB26_27
; %bb.3:
	v_cvt_f32_ubyte0_e32 v1, 0
	v_cvt_f32_u32_e32 v4, s9
	s_sub_u32 s12, 0, s9
	s_subb_u32 s13, 0, 0
	s_delay_alu instid0(VALU_DEP_1) | instskip(NEXT) | instid1(VALU_DEP_1)
	v_fmamk_f32 v1, v1, 0x4f800000, v4
	v_rcp_f32_e32 v1, v1
	s_waitcnt_depctr 0xfff
	v_mul_f32_e32 v1, 0x5f7ffffc, v1
	s_delay_alu instid0(VALU_DEP_1) | instskip(NEXT) | instid1(VALU_DEP_1)
	v_mul_f32_e32 v4, 0x2f800000, v1
	v_trunc_f32_e32 v4, v4
	s_delay_alu instid0(VALU_DEP_1) | instskip(SKIP_1) | instid1(VALU_DEP_2)
	v_fmamk_f32 v1, v4, 0xcf800000, v1
	v_cvt_u32_f32_e32 v4, v4
	v_cvt_u32_f32_e32 v1, v1
	s_delay_alu instid0(VALU_DEP_2) | instskip(NEXT) | instid1(VALU_DEP_2)
	v_readfirstlane_b32 s2, v4
	v_readfirstlane_b32 s7, v1
	s_delay_alu instid0(VALU_DEP_2) | instskip(NEXT) | instid1(VALU_DEP_1)
	s_mul_i32 s14, s12, s2
	s_mul_hi_u32 s17, s12, s7
	s_mul_i32 s16, s13, s7
	s_add_i32 s14, s17, s14
	s_mul_i32 s18, s12, s7
	s_add_i32 s14, s14, s16
	s_mul_hi_u32 s17, s7, s18
	s_mul_hi_u32 s19, s2, s18
	s_mul_i32 s16, s2, s18
	s_mul_hi_u32 s18, s7, s14
	s_mul_i32 s7, s7, s14
	s_mul_hi_u32 s20, s2, s14
	s_add_u32 s7, s17, s7
	s_addc_u32 s17, 0, s18
	s_add_u32 s7, s7, s16
	s_mul_i32 s14, s2, s14
	s_addc_u32 s7, s17, s19
	s_addc_u32 s16, s20, 0
	s_add_u32 s7, s7, s14
	s_addc_u32 s14, 0, s16
	v_add_co_u32 v1, s7, v1, s7
	s_delay_alu instid0(VALU_DEP_1) | instskip(SKIP_1) | instid1(VALU_DEP_1)
	s_cmp_lg_u32 s7, 0
	s_addc_u32 s2, s2, s14
	v_readfirstlane_b32 s7, v1
	s_mul_i32 s14, s12, s2
	s_delay_alu instid0(VALU_DEP_1)
	s_mul_hi_u32 s16, s12, s7
	s_mul_i32 s13, s13, s7
	s_add_i32 s14, s16, s14
	s_mul_i32 s12, s12, s7
	s_add_i32 s14, s14, s13
	s_mul_hi_u32 s16, s2, s12
	s_mul_i32 s17, s2, s12
	s_mul_hi_u32 s12, s7, s12
	s_mul_hi_u32 s18, s7, s14
	s_mul_i32 s7, s7, s14
	s_mul_hi_u32 s13, s2, s14
	s_add_u32 s7, s12, s7
	s_addc_u32 s12, 0, s18
	s_add_u32 s7, s7, s17
	s_mul_i32 s14, s2, s14
	s_addc_u32 s7, s12, s16
	s_addc_u32 s12, s13, 0
	s_add_u32 s7, s7, s14
	s_addc_u32 s12, 0, s12
	v_add_co_u32 v1, s7, v1, s7
	s_delay_alu instid0(VALU_DEP_1) | instskip(SKIP_2) | instid1(VALU_DEP_1)
	s_cmp_lg_u32 s7, 0
	s_addc_u32 s7, s2, s12
	s_ashr_i32 s12, s3, 31
	v_readfirstlane_b32 s14, v1
	s_add_u32 s2, s6, s12
	s_mov_b32 s13, s12
	s_addc_u32 s3, s3, s12
	s_delay_alu instid0(SALU_CYCLE_1) | instskip(NEXT) | instid1(SALU_CYCLE_1)
	s_xor_b64 s[2:3], s[2:3], s[12:13]
	s_mul_i32 s17, s2, s7
	s_mul_hi_u32 s18, s2, s14
	s_mul_hi_u32 s16, s2, s7
	;; [unrolled: 1-line block ×3, first 2 shown]
	s_mul_i32 s14, s3, s14
	s_add_u32 s17, s18, s17
	s_addc_u32 s16, 0, s16
	s_mul_hi_u32 s19, s3, s7
	s_add_u32 s14, s17, s14
	s_mul_i32 s7, s3, s7
	s_addc_u32 s14, s16, s20
	s_addc_u32 s16, s19, 0
	s_add_u32 s7, s14, s7
	s_addc_u32 s14, 0, s16
	s_mul_i32 s17, s9, s7
	s_add_u32 s16, s7, 1
	v_sub_co_u32 v1, s2, s2, s17
	s_mul_hi_u32 s17, s9, s7
	s_addc_u32 s18, s14, 0
	s_mul_i32 s19, s9, s14
	s_delay_alu instid0(VALU_DEP_1)
	v_sub_co_u32 v4, s20, v1, s9
	s_add_u32 s21, s7, 2
	s_addc_u32 s22, s14, 0
	s_add_i32 s17, s17, s19
	s_cmp_lg_u32 s2, 0
	v_readfirstlane_b32 s2, v4
	s_subb_u32 s3, s3, s17
	s_cmp_lg_u32 s20, 0
	s_subb_u32 s17, s3, 0
	s_delay_alu instid0(VALU_DEP_1) | instskip(SKIP_4) | instid1(SALU_CYCLE_1)
	s_cmp_ge_u32 s2, s9
	s_cselect_b32 s2, -1, 0
	s_cmp_eq_u32 s17, 0
	v_readfirstlane_b32 s17, v1
	s_cselect_b32 s2, s2, -1
	s_cmp_lg_u32 s2, 0
	s_cselect_b32 s2, s21, s16
	s_cselect_b32 s16, s22, s18
	s_cmp_ge_u32 s17, s9
	s_cselect_b32 s17, -1, 0
	s_cmp_eq_u32 s3, 0
	s_cselect_b32 s3, s17, -1
	s_delay_alu instid0(SALU_CYCLE_1) | instskip(SKIP_2) | instid1(SALU_CYCLE_1)
	s_cmp_lg_u32 s3, 0
	s_cselect_b32 s3, s16, s14
	s_cselect_b32 s2, s2, s7
	s_xor_b64 s[2:3], s[2:3], s[12:13]
	s_delay_alu instid0(SALU_CYCLE_1)
	s_sub_u32 s2, s2, s12
	s_subb_u32 s3, s3, s12
	s_cbranch_execnz .LBB26_5
.LBB26_4:
	v_cvt_f32_u32_e32 v1, s9
	s_sub_i32 s3, 0, s9
	s_delay_alu instid0(VALU_DEP_1) | instskip(SKIP_2) | instid1(VALU_DEP_1)
	v_rcp_iflag_f32_e32 v1, v1
	s_waitcnt_depctr 0xfff
	v_mul_f32_e32 v1, 0x4f7ffffe, v1
	v_cvt_u32_f32_e32 v1, v1
	s_delay_alu instid0(VALU_DEP_1) | instskip(NEXT) | instid1(VALU_DEP_1)
	v_readfirstlane_b32 s2, v1
	s_mul_i32 s3, s3, s2
	s_delay_alu instid0(SALU_CYCLE_1) | instskip(NEXT) | instid1(SALU_CYCLE_1)
	s_mul_hi_u32 s3, s2, s3
	s_add_i32 s2, s2, s3
	s_delay_alu instid0(SALU_CYCLE_1) | instskip(NEXT) | instid1(SALU_CYCLE_1)
	s_mul_hi_u32 s2, s6, s2
	s_mul_i32 s3, s2, s9
	s_delay_alu instid0(SALU_CYCLE_1)
	s_sub_i32 s3, s6, s3
	s_add_i32 s6, s2, 1
	s_sub_i32 s7, s3, s9
	s_cmp_ge_u32 s3, s9
	s_cselect_b32 s2, s6, s2
	s_cselect_b32 s3, s7, s3
	s_add_i32 s6, s2, 1
	s_cmp_ge_u32 s3, s9
	s_mov_b32 s3, 0
	s_cselect_b32 s2, s6, s2
.LBB26_5:
	v_mov_b32_e32 v1, 0
	s_add_u32 s2, s2, 1
	s_addc_u32 s3, s3, 0
	s_mul_hi_u32 s6, s8, s2
	s_mul_i32 s3, s8, s3
	v_mad_u64_u32 v[13:14], null, s10, s15, v[0:1]
	s_mul_hi_u32 s7, s11, s10
	s_add_i32 s3, s6, s3
	s_mul_i32 s7, s7, s2
	s_mul_i32 s2, s8, s2
	s_add_i32 s3, s3, s7
	s_mov_b32 s6, exec_lo
	s_lshl_b64 s[2:3], s[2:3], 2
	s_delay_alu instid0(SALU_CYCLE_1)
	v_cmpx_gt_i64_e64 s[2:3], v[13:14]
	s_cbranch_execz .LBB26_26
; %bb.6:
	s_load_b64 s[6:7], s[0:1], 0x40
	v_alignbit_b32 v24, v3, v2, 2
	v_lshrrev_b32_e32 v25, 2, v3
	s_mov_b32 s13, 0x3e9b6dac
	s_waitcnt vmcnt(0)
	v_add_co_u32 v23, null, 0x9e3779b9, v11
	v_add_co_u32 v22, null, 0xdaa66d2b, v11
	;; [unrolled: 1-line block ×4, first 2 shown]
	s_mul_i32 s14, s11, 3
	v_add_co_u32 v28, null, 0xb54cda56, v11
	s_add_i32 s14, s15, s14
	v_add_co_u32 v20, null, 0x5384540f, v11
	s_lshl_b32 s16, s11, 1
	v_add_nc_u32_e32 v18, 0x8ff34781, v11
	s_waitcnt lgkmcnt(0)
	v_cvt_f32_f64_e32 v43, s[6:7]
	s_clause 0x1
	s_load_b64 s[6:7], s[0:1], 0x30
	s_load_b32 s12, s[0:1], 0x38
	s_mov_b32 s0, 0
	s_lshl_b32 s1, s8, 1
	v_add_nc_u32_e32 v19, 0x96a522ad, v12
	s_delay_alu instid0(VALU_DEP_2) | instskip(NEXT) | instid1(VALU_DEP_1)
	v_sub_f32_e32 v1, 1.0, v43
	v_cvt_f64_f32_e32 v[4:5], v1
	s_delay_alu instid0(VALU_DEP_1) | instskip(SKIP_1) | instid1(VALU_DEP_1)
	v_frexp_exp_i32_f64_e32 v4, v[4:5]
	v_frexp_mant_f32_e32 v5, v1
	v_cmp_gt_f32_e32 vcc_lo, 0x3f2aaaab, v5
	s_delay_alu instid0(VALU_DEP_3) | instskip(SKIP_2) | instid1(VALU_DEP_3)
	v_subrev_co_ci_u32_e32 v10, vcc_lo, 0, v4, vcc_lo
	v_add_f32_e32 v4, -1.0, v1
	v_cmp_eq_f32_e32 vcc_lo, 0xff800000, v43
	v_sub_nc_u32_e32 v5, 0, v10
	v_cvt_f32_i32_e32 v10, v10
	s_delay_alu instid0(VALU_DEP_4) | instskip(SKIP_1) | instid1(VALU_DEP_3)
	v_sub_f32_e32 v6, v4, v1
	v_sub_f32_e64 v4, -v43, v4
	v_mul_f32_e32 v37, 0x3f317218, v10
	s_delay_alu instid0(VALU_DEP_3) | instskip(SKIP_1) | instid1(VALU_DEP_1)
	v_add_f32_e32 v6, 1.0, v6
	v_ldexp_f32 v1, v1, v5
	v_dual_add_f32 v4, v4, v6 :: v_dual_add_f32 v7, 1.0, v1
	s_delay_alu instid0(VALU_DEP_1) | instskip(NEXT) | instid1(VALU_DEP_2)
	v_ldexp_f32 v4, v4, v5
	v_dual_add_f32 v6, -1.0, v7 :: v_dual_add_f32 v5, -1.0, v1
	s_delay_alu instid0(VALU_DEP_1) | instskip(NEXT) | instid1(VALU_DEP_2)
	v_sub_f32_e32 v6, v1, v6
	v_add_f32_e32 v8, 1.0, v5
	s_delay_alu instid0(VALU_DEP_1) | instskip(NEXT) | instid1(VALU_DEP_1)
	v_sub_f32_e32 v1, v1, v8
	v_add_f32_e32 v1, v4, v1
	s_delay_alu instid0(VALU_DEP_4) | instskip(NEXT) | instid1(VALU_DEP_2)
	v_add_f32_e32 v6, v4, v6
	v_add_f32_e32 v4, v5, v1
	s_delay_alu instid0(VALU_DEP_1) | instskip(NEXT) | instid1(VALU_DEP_1)
	v_sub_f32_e32 v5, v4, v5
	v_dual_sub_f32 v1, v1, v5 :: v_dual_add_f32 v8, v7, v6
	s_delay_alu instid0(VALU_DEP_1) | instskip(SKIP_3) | instid1(VALU_DEP_2)
	v_rcp_f32_e32 v9, v8
	s_waitcnt_depctr 0xfff
	v_mul_f32_e32 v15, v4, v9
	v_sub_f32_e32 v7, v8, v7
	v_mul_f32_e32 v16, v8, v15
	s_delay_alu instid0(VALU_DEP_2) | instskip(NEXT) | instid1(VALU_DEP_2)
	v_sub_f32_e32 v6, v6, v7
	v_fma_f32 v7, v15, v8, -v16
	s_delay_alu instid0(VALU_DEP_1) | instskip(NEXT) | instid1(VALU_DEP_1)
	v_fmac_f32_e32 v7, v15, v6
	v_add_f32_e32 v17, v16, v7
	s_delay_alu instid0(VALU_DEP_1) | instskip(NEXT) | instid1(VALU_DEP_1)
	v_sub_f32_e32 v26, v4, v17
	v_sub_f32_e32 v4, v4, v26
	s_delay_alu instid0(VALU_DEP_1) | instskip(NEXT) | instid1(VALU_DEP_1)
	v_sub_f32_e32 v4, v4, v17
	v_add_f32_e32 v1, v1, v4
	v_sub_f32_e32 v5, v17, v16
	v_and_b32_e32 v17, 3, v2
	s_delay_alu instid0(VALU_DEP_2) | instskip(NEXT) | instid1(VALU_DEP_1)
	v_sub_f32_e32 v5, v5, v7
	v_add_f32_e32 v4, v5, v1
	v_mad_u64_u32 v[1:2], null, 0xcd9e8d57, v13, 0
	s_delay_alu instid0(VALU_DEP_2) | instskip(NEXT) | instid1(VALU_DEP_2)
	v_add_f32_e32 v5, v26, v4
	v_xor3_b32 v2, v11, v2, v25
	s_delay_alu instid0(VALU_DEP_2) | instskip(NEXT) | instid1(VALU_DEP_1)
	v_mul_f32_e32 v7, v9, v5
	v_mul_f32_e32 v16, v8, v7
	v_dual_mov_b32 v38, v12 :: v_dual_sub_f32 v3, v26, v5
	v_add_co_u32 v26, null, 0x3c6ef372, v11
	s_delay_alu instid0(VALU_DEP_3) | instskip(NEXT) | instid1(VALU_DEP_3)
	v_fma_f32 v8, v7, v8, -v16
	v_add_co_u32 v31, null, 0x76cf5d0a, v38
	s_delay_alu instid0(VALU_DEP_4) | instskip(SKIP_1) | instid1(VALU_DEP_4)
	v_add_f32_e32 v29, v4, v3
	v_mad_u64_u32 v[3:4], null, 0xd2511f53, v24, 0
	v_fmac_f32_e32 v8, v7, v6
	v_add_co_u32 v32, null, 0x32370b8f, v38
	v_add_co_u32 v35, null, 0xa9066899, v38
	s_delay_alu instid0(VALU_DEP_3) | instskip(NEXT) | instid1(VALU_DEP_1)
	v_add_f32_e32 v6, v16, v8
	v_sub_f32_e32 v30, v5, v6
	s_delay_alu instid0(VALU_DEP_1) | instskip(NEXT) | instid1(VALU_DEP_1)
	v_dual_sub_f32 v5, v5, v30 :: v_dual_sub_f32 v16, v6, v16
	v_dual_sub_f32 v5, v5, v6 :: v_dual_sub_f32 v6, v16, v8
	v_add_f32_e32 v16, v15, v7
	v_xor_b32_e32 v8, v4, v12
	s_delay_alu instid0(VALU_DEP_3) | instskip(SKIP_1) | instid1(VALU_DEP_3)
	v_add_f32_e32 v5, v29, v5
	v_add_co_u32 v29, null, 0xf1bbcdc8, v11
	v_xor_b32_e32 v8, v8, v14
	s_delay_alu instid0(VALU_DEP_3) | instskip(SKIP_2) | instid1(VALU_DEP_1)
	v_add_f32_e32 v6, v6, v5
	v_mad_u64_u32 v[4:5], null, 0xd2511f53, v2, 0
	v_sub_f32_e32 v2, v16, v15
	v_sub_f32_e32 v7, v7, v2
	s_delay_alu instid0(VALU_DEP_4) | instskip(SKIP_1) | instid1(VALU_DEP_2)
	v_add_f32_e32 v6, v30, v6
	v_add_co_u32 v30, null, 0xbb67ae85, v38
	v_mul_f32_e32 v6, v9, v6
	s_delay_alu instid0(VALU_DEP_2) | instskip(SKIP_1) | instid1(VALU_DEP_3)
	v_xor3_b32 v9, v30, v5, v3
	v_mad_u64_u32 v[2:3], null, 0xcd9e8d57, v8, 0
	v_add_f32_e32 v15, v7, v6
	s_delay_alu instid0(VALU_DEP_3) | instskip(SKIP_1) | instid1(VALU_DEP_3)
	v_mad_u64_u32 v[5:6], null, 0xcd9e8d57, v9, 0
	v_mad_u64_u32 v[7:8], null, s15, s10, v[0:1]
	v_add_f32_e32 v33, v16, v15
	v_xor3_b32 v3, v23, v3, v1
	s_delay_alu instid0(VALU_DEP_4) | instskip(NEXT) | instid1(VALU_DEP_3)
	v_xor3_b32 v6, v26, v6, v2
	v_mul_f32_e32 v34, v33, v33
	s_delay_alu instid0(VALU_DEP_3) | instskip(NEXT) | instid1(VALU_DEP_3)
	v_mad_u64_u32 v[1:2], null, 0xd2511f53, v3, 0
	v_mad_u64_u32 v[8:9], null, 0xd2511f53, v6, 0
	s_delay_alu instid0(VALU_DEP_3)
	v_fmaak_f32 v3, s13, v34, 0x3ecc95a3
	v_mul_f32_e32 v6, v33, v34
	v_sub_f32_e32 v16, v33, v16
	v_xor3_b32 v4, v31, v2, v4
	s_add_i32 s13, s15, s11
	v_fmaak_f32 v3, v34, v3, 0x3f2aaada
	v_ldexp_f32 v34, v33, 1
	v_xor3_b32 v9, v32, v9, v1
	v_mad_u64_u32 v[1:2], null, 0xcd9e8d57, v4, 0
	s_delay_alu instid0(VALU_DEP_4) | instskip(NEXT) | instid1(VALU_DEP_3)
	v_dual_mul_f32 v6, v6, v3 :: v_dual_mov_b32 v33, v13
	v_mad_u64_u32 v[3:4], null, 0xcd9e8d57, v9, 0
	s_delay_alu instid0(VALU_DEP_2) | instskip(SKIP_3) | instid1(VALU_DEP_3)
	v_dual_sub_f32 v9, v15, v16 :: v_dual_add_f32 v36, v34, v6
	v_fma_f32 v16, 0x3f317218, v10, -v37
	v_xor3_b32 v5, v22, v2, v5
	s_add_i32 s15, s15, s16
	v_ldexp_f32 v9, v9, 1
	s_delay_alu instid0(VALU_DEP_3) | instskip(SKIP_3) | instid1(VALU_DEP_2)
	v_dual_sub_f32 v15, v36, v34 :: v_dual_fmamk_f32 v16, v10, 0xb102e308, v16
	v_add_co_u32 v34, null, 0xed9eba14, v38
	s_waitcnt lgkmcnt(0)
	s_mul_i32 s11, s11, s12
	v_dual_sub_f32 v6, v6, v15 :: v_dual_add_f32 v39, v37, v16
	v_xor3_b32 v15, v27, v4, v1
	v_mad_u64_u32 v[1:2], null, 0xd2511f53, v5, 0
	s_delay_alu instid0(VALU_DEP_3) | instskip(NEXT) | instid1(VALU_DEP_3)
	v_dual_add_f32 v6, v9, v6 :: v_dual_sub_f32 v37, v39, v37
	v_mad_u64_u32 v[4:5], null, 0xd2511f53, v15, 0
	s_mul_i32 s11, s11, s10
	s_delay_alu instid0(VALU_DEP_2) | instskip(NEXT) | instid1(VALU_DEP_4)
	v_add_f32_e32 v40, v36, v6
	v_xor3_b32 v2, v34, v2, v8
	v_mad_u64_u32 v[8:9], null, s13, s10, v[0:1]
	s_lshl_b32 s11, s11, 2
	s_delay_alu instid0(VALU_DEP_3) | instskip(SKIP_2) | instid1(VALU_DEP_3)
	v_add_f32_e32 v41, v39, v40
	v_xor3_b32 v5, v35, v5, v1
	v_mad_u64_u32 v[9:10], null, 0xcd9e8d57, v2, 0
	v_sub_f32_e32 v15, v41, v39
	s_delay_alu instid0(VALU_DEP_3) | instskip(NEXT) | instid1(VALU_DEP_2)
	v_mad_u64_u32 v[1:2], null, 0xcd9e8d57, v5, 0
	v_dual_sub_f32 v42, v16, v37 :: v_dual_sub_f32 v5, v41, v15
	s_delay_alu instid0(VALU_DEP_4) | instskip(SKIP_1) | instid1(VALU_DEP_4)
	v_xor3_b32 v3, v21, v10, v3
	v_sub_f32_e32 v10, v40, v15
	v_xor3_b32 v9, v28, v2, v9
	s_delay_alu instid0(VALU_DEP_4) | instskip(NEXT) | instid1(VALU_DEP_1)
	v_dual_sub_f32 v15, v39, v5 :: v_dual_sub_f32 v36, v40, v36
	v_sub_f32_e32 v44, v6, v36
	v_mad_u64_u32 v[5:6], null, 0xd2511f53, v3, 0
	v_add_co_u32 v36, null, 0x646e171e, v38
	s_delay_alu instid0(VALU_DEP_3) | instskip(SKIP_2) | instid1(VALU_DEP_4)
	v_add_f32_e32 v37, v42, v44
	v_add_f32_e32 v3, v10, v15
	v_mad_u64_u32 v[15:16], null, s14, s10, v[0:1]
	v_xor3_b32 v4, v36, v6, v4
	s_delay_alu instid0(VALU_DEP_3) | instskip(SKIP_1) | instid1(VALU_DEP_3)
	v_add_f32_e32 v16, v37, v3
	v_mad_u64_u32 v[2:3], null, 0xd2511f53, v9, 0
	v_mad_u64_u32 v[9:10], null, 0xcd9e8d57, v4, 0
	s_delay_alu instid0(VALU_DEP_3) | instskip(NEXT) | instid1(VALU_DEP_1)
	v_add_f32_e32 v40, v41, v16
	v_dual_sub_f32 v6, v37, v42 :: v_dual_sub_f32 v39, v40, v41
	s_delay_alu instid0(VALU_DEP_1) | instskip(SKIP_2) | instid1(VALU_DEP_4)
	v_sub_f32_e32 v4, v37, v6
	v_add_co_u32 v37, null, 0x1fd5c5a3, v38
	v_sub_f32_e32 v6, v44, v6
	v_sub_f32_e32 v16, v16, v39
	s_delay_alu instid0(VALU_DEP_4) | instskip(NEXT) | instid1(VALU_DEP_4)
	v_sub_f32_e32 v4, v42, v4
	v_xor3_b32 v3, v37, v3, v5
	v_xor3_b32 v10, v20, v10, v1
	v_mad_u64_u32 v[41:42], null, s15, s10, v[0:1]
	s_delay_alu instid0(VALU_DEP_4) | instskip(NEXT) | instid1(VALU_DEP_4)
	v_add_f32_e32 v6, v6, v4
	v_mad_u64_u32 v[0:1], null, 0xcd9e8d57, v3, 0
	s_delay_alu instid0(VALU_DEP_4) | instskip(NEXT) | instid1(VALU_DEP_3)
	v_mad_u64_u32 v[4:5], null, 0xd2511f53, v10, 0
	v_add_f32_e32 v3, v6, v16
	v_add_co_u32 v38, null, 0xdb3d7428, v38
	v_mul_lo_u32 v39, s12, v7
	v_xor3_b32 v1, v29, v1, v9
	s_delay_alu instid0(VALU_DEP_4) | instskip(NEXT) | instid1(VALU_DEP_4)
	v_add_f32_e32 v3, v40, v3
	v_xor3_b32 v7, v38, v5, v2
	v_cmp_gt_f32_e64 s10, 0x33800000, |v43|
	v_mul_lo_u32 v40, s12, v15
	v_mad_u64_u32 v[5:6], null, 0xd2511f53, v1, 0
	v_cndmask_b32_e64 v3, v3, -v43, vcc_lo
	v_cmp_nlt_f32_e32 vcc_lo, 1.0, v43
	v_mad_u64_u32 v[1:2], null, 0xcd9e8d57, v7, 0
	v_mul_lo_u32 v41, s12, v41
	v_mul_lo_u32 v42, s12, v8
	v_cndmask_b32_e32 v3, 0x7fc00000, v3, vcc_lo
	v_cmp_neq_f32_e32 vcc_lo, 1.0, v43
	v_mov_b32_e32 v44, v14
	s_mov_b32 s12, 0
	v_xor3_b32 v0, v2, v0, v18
	v_xor3_b32 v2, v6, v4, v19
	v_cndmask_b32_e32 v7, 0xff800000, v3, vcc_lo
	v_mov_b32_e32 v3, v5
	s_delay_alu instid0(VALU_DEP_2)
	v_cndmask_b32_e64 v43, v7, -v43, s10
	s_mul_i32 s10, s8, 3
	s_branch .LBB26_8
.LBB26_7:                               ;   in Loop: Header=BB26_8 Depth=1
	s_or_b32 exec_lo, exec_lo, s13
	v_add_co_u32 v13, vcc_lo, v13, s9
	v_add_co_ci_u32_e32 v14, vcc_lo, 0, v14, vcc_lo
	v_mov_b32_e32 v7, v15
	v_dual_mov_b32 v0, v4 :: v_dual_mov_b32 v1, v5
	s_delay_alu instid0(VALU_DEP_3) | instskip(NEXT) | instid1(VALU_DEP_3)
	v_cmp_le_i64_e32 vcc_lo, s[2:3], v[13:14]
	v_dual_mov_b32 v2, v6 :: v_dual_mov_b32 v3, v7
	s_add_i32 s12, s12, s11
	s_waitcnt_vscnt null, 0x0
	s_barrier
	s_or_b32 s0, vcc_lo, s0
	buffer_gl0_inv
	s_and_not1_b32 exec_lo, exec_lo, s0
	s_cbranch_execz .LBB26_26
.LBB26_8:                               ; =>This Inner Loop Header: Depth=1
	v_add_co_u32 v24, vcc_lo, v24, 1
	s_delay_alu instid0(VALU_DEP_1) | instskip(SKIP_2) | instid1(VALU_DEP_1)
	v_cndmask_b32_e64 v4, 0, 1, vcc_lo
	v_add_co_ci_u32_e32 v25, vcc_lo, 0, v25, vcc_lo
	s_mov_b32 s13, exec_lo
	v_cmp_eq_u32_e32 vcc_lo, 0, v25
	s_delay_alu instid0(VALU_DEP_3) | instskip(NEXT) | instid1(VALU_DEP_1)
	v_cndmask_b32_e32 v4, 0, v4, vcc_lo
	v_add_nc_u32_e32 v33, v4, v33
	s_delay_alu instid0(VALU_DEP_1) | instskip(SKIP_2) | instid1(VALU_DEP_2)
	v_cmp_eq_u32_e32 vcc_lo, 0, v33
	v_cndmask_b32_e32 v4, 0, v4, vcc_lo
	v_mad_u64_u32 v[6:7], null, 0xcd9e8d57, v33, 0
	v_add_nc_u32_e32 v44, v4, v44
	v_mad_u64_u32 v[4:5], null, 0xd2511f53, v24, 0
	s_delay_alu instid0(VALU_DEP_3) | instskip(NEXT) | instid1(VALU_DEP_2)
	v_xor3_b32 v9, v7, v11, v25
	v_xor_b32_e32 v5, v5, v12
	s_delay_alu instid0(VALU_DEP_2) | instskip(NEXT) | instid1(VALU_DEP_2)
	v_mad_u64_u32 v[7:8], null, 0xd2511f53, v9, 0
	v_xor_b32_e32 v5, v44, v5
	s_delay_alu instid0(VALU_DEP_2) | instskip(NEXT) | instid1(VALU_DEP_2)
	v_xor3_b32 v8, v30, v8, v4
	v_mad_u64_u32 v[9:10], null, 0xcd9e8d57, v5, 0
	s_delay_alu instid0(VALU_DEP_2) | instskip(NEXT) | instid1(VALU_DEP_2)
	v_mad_u64_u32 v[4:5], null, 0xcd9e8d57, v8, 0
	v_xor3_b32 v6, v23, v10, v6
	s_delay_alu instid0(VALU_DEP_2) | instskip(NEXT) | instid1(VALU_DEP_2)
	v_xor3_b32 v8, v26, v5, v9
	v_mad_u64_u32 v[15:16], null, 0xd2511f53, v6, 0
	s_delay_alu instid0(VALU_DEP_2) | instskip(NEXT) | instid1(VALU_DEP_2)
	v_mad_u64_u32 v[5:6], null, 0xd2511f53, v8, 0
	v_xor3_b32 v9, v31, v16, v7
	s_delay_alu instid0(VALU_DEP_2) | instskip(NEXT) | instid1(VALU_DEP_2)
	v_xor3_b32 v6, v32, v6, v15
	v_mad_u64_u32 v[7:8], null, 0xcd9e8d57, v9, 0
	s_delay_alu instid0(VALU_DEP_1) | instskip(NEXT) | instid1(VALU_DEP_3)
	v_xor3_b32 v4, v22, v8, v4
	v_mad_u64_u32 v[8:9], null, 0xcd9e8d57, v6, 0
	s_delay_alu instid0(VALU_DEP_2) | instskip(NEXT) | instid1(VALU_DEP_2)
	v_mad_u64_u32 v[15:16], null, 0xd2511f53, v4, 0
	v_xor3_b32 v6, v27, v9, v7
	s_delay_alu instid0(VALU_DEP_2) | instskip(NEXT) | instid1(VALU_DEP_2)
	v_xor3_b32 v9, v34, v16, v5
	v_mad_u64_u32 v[4:5], null, 0xd2511f53, v6, 0
	s_delay_alu instid0(VALU_DEP_2) | instskip(NEXT) | instid1(VALU_DEP_2)
	v_mad_u64_u32 v[6:7], null, 0xcd9e8d57, v9, 0
	v_xor3_b32 v5, v35, v5, v15
	s_delay_alu instid0(VALU_DEP_2) | instskip(NEXT) | instid1(VALU_DEP_2)
	;; [unrolled: 6-line block ×6, first 2 shown]
	v_xor3_b32 v4, v6, v7, v18
	v_mov_b32_e32 v6, v10
	v_cmpx_lt_i32_e32 1, v17
	s_xor_b32 s13, exec_lo, s13
	s_cbranch_execnz .LBB26_18
; %bb.9:                                ;   in Loop: Header=BB26_8 Depth=1
	s_and_not1_saveexec_b32 s13, s13
	s_cbranch_execnz .LBB26_23
.LBB26_10:                              ;   in Loop: Header=BB26_8 Depth=1
	s_or_b32 exec_lo, exec_lo, s13
	s_delay_alu instid0(SALU_CYCLE_1)
	s_mov_b32 s13, exec_lo
	v_cmpx_gt_i64_e64 s[4:5], v[13:14]
	s_cbranch_execz .LBB26_12
.LBB26_11:                              ;   in Loop: Header=BB26_8 Depth=1
	v_cvt_f32_u32_e32 v0, v0
	s_delay_alu instid0(VALU_DEP_1) | instskip(NEXT) | instid1(VALU_DEP_1)
	v_fmaak_f32 v0, 0x2f800000, v0, 0x2f800000
	v_cmp_gt_f32_e32 vcc_lo, 0x800000, v0
	v_cndmask_b32_e64 v7, 1.0, 0x4f800000, vcc_lo
	s_delay_alu instid0(VALU_DEP_1) | instskip(NEXT) | instid1(VALU_DEP_1)
	v_mul_f32_e32 v0, v0, v7
	v_log_f32_e32 v0, v0
	s_waitcnt_depctr 0xfff
	v_mul_f32_e32 v7, 0x3f317217, v0
	s_delay_alu instid0(VALU_DEP_1) | instskip(NEXT) | instid1(VALU_DEP_1)
	v_fma_f32 v8, 0x3f317217, v0, -v7
	v_fmac_f32_e32 v8, 0x3377d1cf, v0
	s_delay_alu instid0(VALU_DEP_1) | instskip(SKIP_2) | instid1(VALU_DEP_3)
	v_add_f32_e32 v7, v7, v8
	v_cndmask_b32_e64 v8, 0, 0x41b17218, vcc_lo
	v_cmp_gt_f32_e64 vcc_lo, 0x7f800000, |v0|
	v_cndmask_b32_e32 v0, v0, v7, vcc_lo
	s_delay_alu instid0(VALU_DEP_1) | instskip(NEXT) | instid1(VALU_DEP_1)
	v_sub_f32_e32 v0, v0, v8
	v_div_scale_f32 v7, null, v43, v43, v0
	s_delay_alu instid0(VALU_DEP_1) | instskip(SKIP_2) | instid1(VALU_DEP_1)
	v_rcp_f32_e32 v8, v7
	s_waitcnt_depctr 0xfff
	v_fma_f32 v9, -v7, v8, 1.0
	v_fmac_f32_e32 v8, v9, v8
	v_div_scale_f32 v9, vcc_lo, v0, v43, v0
	s_delay_alu instid0(VALU_DEP_1) | instskip(NEXT) | instid1(VALU_DEP_1)
	v_mul_f32_e32 v10, v9, v8
	v_fma_f32 v16, -v7, v10, v9
	s_delay_alu instid0(VALU_DEP_1) | instskip(NEXT) | instid1(VALU_DEP_1)
	v_fmac_f32_e32 v10, v16, v8
	v_fma_f32 v7, -v7, v10, v9
	v_add_nc_u32_e32 v9, s12, v39
	s_delay_alu instid0(VALU_DEP_2) | instskip(NEXT) | instid1(VALU_DEP_2)
	v_div_fmas_f32 v7, v7, v8, v10
	v_ashrrev_i32_e32 v8, 31, v9
	s_delay_alu instid0(VALU_DEP_2) | instskip(SKIP_1) | instid1(VALU_DEP_3)
	v_div_fixup_f32 v0, v7, v43, v0
	v_add_co_u32 v7, vcc_lo, s6, v9
	v_add_co_ci_u32_e32 v8, vcc_lo, s7, v8, vcc_lo
	s_delay_alu instid0(VALU_DEP_3)
	v_ceil_f32_e32 v0, v0
	global_store_b32 v[7:8], v0, off
.LBB26_12:                              ;   in Loop: Header=BB26_8 Depth=1
	s_or_b32 exec_lo, exec_lo, s13
	v_add_co_u32 v7, vcc_lo, s8, v13
	v_add_co_ci_u32_e32 v8, vcc_lo, 0, v14, vcc_lo
	s_mov_b32 s13, exec_lo
	s_delay_alu instid0(VALU_DEP_1)
	v_cmpx_gt_i64_e64 s[4:5], v[7:8]
	s_cbranch_execz .LBB26_14
; %bb.13:                               ;   in Loop: Header=BB26_8 Depth=1
	v_cvt_f32_u32_e32 v0, v1
	s_delay_alu instid0(VALU_DEP_1) | instskip(NEXT) | instid1(VALU_DEP_1)
	v_fmaak_f32 v0, 0x2f800000, v0, 0x2f800000
	v_cmp_gt_f32_e32 vcc_lo, 0x800000, v0
	v_cndmask_b32_e64 v1, 1.0, 0x4f800000, vcc_lo
	s_delay_alu instid0(VALU_DEP_1) | instskip(NEXT) | instid1(VALU_DEP_1)
	v_mul_f32_e32 v0, v0, v1
	v_log_f32_e32 v0, v0
	s_waitcnt_depctr 0xfff
	v_mul_f32_e32 v1, 0x3f317217, v0
	s_delay_alu instid0(VALU_DEP_1) | instskip(NEXT) | instid1(VALU_DEP_1)
	v_fma_f32 v7, 0x3f317217, v0, -v1
	v_fmac_f32_e32 v7, 0x3377d1cf, v0
	s_delay_alu instid0(VALU_DEP_1) | instskip(SKIP_2) | instid1(VALU_DEP_3)
	v_add_f32_e32 v1, v1, v7
	v_cndmask_b32_e64 v7, 0, 0x41b17218, vcc_lo
	v_cmp_gt_f32_e64 vcc_lo, 0x7f800000, |v0|
	v_cndmask_b32_e32 v0, v0, v1, vcc_lo
	s_delay_alu instid0(VALU_DEP_1) | instskip(NEXT) | instid1(VALU_DEP_1)
	v_sub_f32_e32 v0, v0, v7
	v_div_scale_f32 v1, null, v43, v43, v0
	s_delay_alu instid0(VALU_DEP_1) | instskip(SKIP_2) | instid1(VALU_DEP_1)
	v_rcp_f32_e32 v7, v1
	s_waitcnt_depctr 0xfff
	v_fma_f32 v8, -v1, v7, 1.0
	v_fmac_f32_e32 v7, v8, v7
	v_div_scale_f32 v8, vcc_lo, v0, v43, v0
	s_delay_alu instid0(VALU_DEP_1) | instskip(NEXT) | instid1(VALU_DEP_1)
	v_mul_f32_e32 v9, v8, v7
	v_fma_f32 v10, -v1, v9, v8
	s_delay_alu instid0(VALU_DEP_1) | instskip(NEXT) | instid1(VALU_DEP_1)
	v_fmac_f32_e32 v9, v10, v7
	v_fma_f32 v1, -v1, v9, v8
	v_add_nc_u32_e32 v8, s12, v42
	s_delay_alu instid0(VALU_DEP_2) | instskip(NEXT) | instid1(VALU_DEP_2)
	v_div_fmas_f32 v1, v1, v7, v9
	v_ashrrev_i32_e32 v7, 31, v8
	s_delay_alu instid0(VALU_DEP_2) | instskip(SKIP_1) | instid1(VALU_DEP_3)
	v_div_fixup_f32 v9, v1, v43, v0
	v_add_co_u32 v0, vcc_lo, s6, v8
	v_add_co_ci_u32_e32 v1, vcc_lo, s7, v7, vcc_lo
	s_delay_alu instid0(VALU_DEP_3)
	v_ceil_f32_e32 v7, v9
	global_store_b32 v[0:1], v7, off
.LBB26_14:                              ;   in Loop: Header=BB26_8 Depth=1
	s_or_b32 exec_lo, exec_lo, s13
	v_add_co_u32 v0, vcc_lo, s1, v13
	v_add_co_ci_u32_e32 v1, vcc_lo, 0, v14, vcc_lo
	s_mov_b32 s13, exec_lo
	s_delay_alu instid0(VALU_DEP_1)
	v_cmpx_gt_i64_e64 s[4:5], v[0:1]
	s_cbranch_execz .LBB26_16
; %bb.15:                               ;   in Loop: Header=BB26_8 Depth=1
	v_cvt_f32_u32_e32 v0, v2
	s_delay_alu instid0(VALU_DEP_1) | instskip(NEXT) | instid1(VALU_DEP_1)
	v_fmaak_f32 v0, 0x2f800000, v0, 0x2f800000
	v_cmp_gt_f32_e32 vcc_lo, 0x800000, v0
	v_cndmask_b32_e64 v1, 1.0, 0x4f800000, vcc_lo
	s_delay_alu instid0(VALU_DEP_1) | instskip(NEXT) | instid1(VALU_DEP_1)
	v_mul_f32_e32 v0, v0, v1
	v_log_f32_e32 v0, v0
	s_waitcnt_depctr 0xfff
	v_mul_f32_e32 v1, 0x3f317217, v0
	s_delay_alu instid0(VALU_DEP_1) | instskip(NEXT) | instid1(VALU_DEP_1)
	v_fma_f32 v2, 0x3f317217, v0, -v1
	v_fmac_f32_e32 v2, 0x3377d1cf, v0
	s_delay_alu instid0(VALU_DEP_1) | instskip(SKIP_2) | instid1(VALU_DEP_3)
	v_add_f32_e32 v1, v1, v2
	v_cndmask_b32_e64 v2, 0, 0x41b17218, vcc_lo
	v_cmp_gt_f32_e64 vcc_lo, 0x7f800000, |v0|
	v_cndmask_b32_e32 v0, v0, v1, vcc_lo
	s_delay_alu instid0(VALU_DEP_1) | instskip(NEXT) | instid1(VALU_DEP_1)
	v_sub_f32_e32 v0, v0, v2
	v_div_scale_f32 v1, null, v43, v43, v0
	s_delay_alu instid0(VALU_DEP_1) | instskip(SKIP_2) | instid1(VALU_DEP_1)
	v_rcp_f32_e32 v2, v1
	s_waitcnt_depctr 0xfff
	v_fma_f32 v7, -v1, v2, 1.0
	v_fmac_f32_e32 v2, v7, v2
	v_div_scale_f32 v7, vcc_lo, v0, v43, v0
	s_delay_alu instid0(VALU_DEP_1) | instskip(NEXT) | instid1(VALU_DEP_1)
	v_mul_f32_e32 v8, v7, v2
	v_fma_f32 v9, -v1, v8, v7
	s_delay_alu instid0(VALU_DEP_1) | instskip(NEXT) | instid1(VALU_DEP_1)
	v_fmac_f32_e32 v8, v9, v2
	v_fma_f32 v1, -v1, v8, v7
	v_add_nc_u32_e32 v7, s12, v41
	s_delay_alu instid0(VALU_DEP_2) | instskip(NEXT) | instid1(VALU_DEP_2)
	v_div_fmas_f32 v1, v1, v2, v8
	v_ashrrev_i32_e32 v2, 31, v7
	s_delay_alu instid0(VALU_DEP_2) | instskip(SKIP_1) | instid1(VALU_DEP_3)
	v_div_fixup_f32 v8, v1, v43, v0
	v_add_co_u32 v0, vcc_lo, s6, v7
	v_add_co_ci_u32_e32 v1, vcc_lo, s7, v2, vcc_lo
	s_delay_alu instid0(VALU_DEP_3)
	v_ceil_f32_e32 v2, v8
	global_store_b32 v[0:1], v2, off
.LBB26_16:                              ;   in Loop: Header=BB26_8 Depth=1
	s_or_b32 exec_lo, exec_lo, s13
	v_add_co_u32 v0, vcc_lo, s10, v13
	v_add_co_ci_u32_e32 v1, vcc_lo, 0, v14, vcc_lo
	s_mov_b32 s13, exec_lo
	s_delay_alu instid0(VALU_DEP_1)
	v_cmpx_gt_i64_e64 s[4:5], v[0:1]
	s_cbranch_execz .LBB26_7
; %bb.17:                               ;   in Loop: Header=BB26_8 Depth=1
	v_cvt_f32_u32_e32 v0, v3
	s_delay_alu instid0(VALU_DEP_1) | instskip(NEXT) | instid1(VALU_DEP_1)
	v_fmaak_f32 v0, 0x2f800000, v0, 0x2f800000
	v_cmp_gt_f32_e32 vcc_lo, 0x800000, v0
	v_cndmask_b32_e64 v1, 1.0, 0x4f800000, vcc_lo
	s_delay_alu instid0(VALU_DEP_1) | instskip(NEXT) | instid1(VALU_DEP_1)
	v_mul_f32_e32 v0, v0, v1
	v_log_f32_e32 v0, v0
	s_waitcnt_depctr 0xfff
	v_mul_f32_e32 v1, 0x3f317217, v0
	s_delay_alu instid0(VALU_DEP_1) | instskip(NEXT) | instid1(VALU_DEP_1)
	v_fma_f32 v2, 0x3f317217, v0, -v1
	v_fmac_f32_e32 v2, 0x3377d1cf, v0
	s_delay_alu instid0(VALU_DEP_1) | instskip(SKIP_2) | instid1(VALU_DEP_3)
	v_add_f32_e32 v1, v1, v2
	v_cndmask_b32_e64 v2, 0, 0x41b17218, vcc_lo
	v_cmp_gt_f32_e64 vcc_lo, 0x7f800000, |v0|
	v_cndmask_b32_e32 v0, v0, v1, vcc_lo
	s_delay_alu instid0(VALU_DEP_1) | instskip(NEXT) | instid1(VALU_DEP_1)
	v_sub_f32_e32 v0, v0, v2
	v_div_scale_f32 v1, null, v43, v43, v0
	s_delay_alu instid0(VALU_DEP_1) | instskip(SKIP_2) | instid1(VALU_DEP_1)
	v_rcp_f32_e32 v2, v1
	s_waitcnt_depctr 0xfff
	v_fma_f32 v3, -v1, v2, 1.0
	v_fmac_f32_e32 v2, v3, v2
	v_div_scale_f32 v3, vcc_lo, v0, v43, v0
	s_delay_alu instid0(VALU_DEP_1) | instskip(NEXT) | instid1(VALU_DEP_1)
	v_mul_f32_e32 v7, v3, v2
	v_fma_f32 v8, -v1, v7, v3
	s_delay_alu instid0(VALU_DEP_1) | instskip(NEXT) | instid1(VALU_DEP_1)
	v_fmac_f32_e32 v7, v8, v2
	v_fma_f32 v1, -v1, v7, v3
	v_add_nc_u32_e32 v3, s12, v40
	s_delay_alu instid0(VALU_DEP_2) | instskip(NEXT) | instid1(VALU_DEP_2)
	v_div_fmas_f32 v1, v1, v2, v7
	v_ashrrev_i32_e32 v2, 31, v3
	s_delay_alu instid0(VALU_DEP_2) | instskip(SKIP_1) | instid1(VALU_DEP_3)
	v_div_fixup_f32 v7, v1, v43, v0
	v_add_co_u32 v0, vcc_lo, s6, v3
	v_add_co_ci_u32_e32 v1, vcc_lo, s7, v2, vcc_lo
	s_delay_alu instid0(VALU_DEP_3)
	v_ceil_f32_e32 v2, v7
	global_store_b32 v[0:1], v2, off
	s_branch .LBB26_7
.LBB26_18:                              ;   in Loop: Header=BB26_8 Depth=1
	s_mov_b32 s14, exec_lo
	v_cmpx_lt_i32_e32 2, v17
	s_xor_b32 s14, exec_lo, s14
; %bb.19:                               ;   in Loop: Header=BB26_8 Depth=1
	v_dual_mov_b32 v7, v3 :: v_dual_mov_b32 v8, v4
	v_mov_b32_e32 v9, v5
	s_delay_alu instid0(VALU_DEP_2) | instskip(NEXT) | instid1(VALU_DEP_2)
	v_dual_mov_b32 v0, v7 :: v_dual_mov_b32 v1, v8
	v_dual_mov_b32 v2, v9 :: v_dual_mov_b32 v3, v10
; %bb.20:                               ;   in Loop: Header=BB26_8 Depth=1
	s_and_not1_saveexec_b32 s14, s14
; %bb.21:                               ;   in Loop: Header=BB26_8 Depth=1
	s_delay_alu instid0(VALU_DEP_1)
	v_dual_mov_b32 v0, v2 :: v_dual_mov_b32 v1, v3
	v_dual_mov_b32 v2, v4 :: v_dual_mov_b32 v3, v5
; %bb.22:                               ;   in Loop: Header=BB26_8 Depth=1
	s_or_b32 exec_lo, exec_lo, s14
	s_and_not1_saveexec_b32 s13, s13
	s_cbranch_execz .LBB26_10
.LBB26_23:                              ;   in Loop: Header=BB26_8 Depth=1
	s_mov_b32 s14, exec_lo
	v_cmpx_eq_u32_e32 1, v17
; %bb.24:                               ;   in Loop: Header=BB26_8 Depth=1
	v_dual_mov_b32 v0, v1 :: v_dual_mov_b32 v1, v2
	v_dual_mov_b32 v2, v3 :: v_dual_mov_b32 v3, v4
; %bb.25:                               ;   in Loop: Header=BB26_8 Depth=1
	s_or_b32 exec_lo, exec_lo, s14
	s_delay_alu instid0(SALU_CYCLE_1) | instskip(NEXT) | instid1(SALU_CYCLE_1)
	s_or_b32 exec_lo, exec_lo, s13
	s_mov_b32 s13, exec_lo
	v_cmpx_gt_i64_e64 s[4:5], v[13:14]
	s_cbranch_execnz .LBB26_11
	s_branch .LBB26_12
.LBB26_26:
	s_endpgm
.LBB26_27:
                                        ; implicit-def: $sgpr2_sgpr3
	s_branch .LBB26_4
	.section	.rodata,"a",@progbits
	.p2align	6, 0x0
	.amdhsa_kernel _ZN2at6native12_GLOBAL__N_143distribution_elementwise_grid_stride_kernelIfLi4EZNS0_9templates4cuda21uniform_and_transformIffPNS_17CUDAGeneratorImplEZZZNS4_16geometric_kernelIS7_EEvRNS_18TensorIteratorBaseEdT_ENKUlvE_clEvENKUlvE5_clEvEUlfE_EEvSA_T1_T2_EUlP25hiprandStatePhilox4_32_10E0_ZNS1_27distribution_nullary_kernelIff15HIP_vector_typeIfLj4EES7_SJ_SE_EEvSA_SG_RKT3_T4_EUlifE_EEvlNS_15PhiloxCudaStateESF_SG_
		.amdhsa_group_segment_fixed_size 0
		.amdhsa_private_segment_fixed_size 0
		.amdhsa_kernarg_size 328
		.amdhsa_user_sgpr_count 15
		.amdhsa_user_sgpr_dispatch_ptr 0
		.amdhsa_user_sgpr_queue_ptr 0
		.amdhsa_user_sgpr_kernarg_segment_ptr 1
		.amdhsa_user_sgpr_dispatch_id 0
		.amdhsa_user_sgpr_private_segment_size 0
		.amdhsa_wavefront_size32 1
		.amdhsa_uses_dynamic_stack 0
		.amdhsa_enable_private_segment 0
		.amdhsa_system_sgpr_workgroup_id_x 1
		.amdhsa_system_sgpr_workgroup_id_y 0
		.amdhsa_system_sgpr_workgroup_id_z 0
		.amdhsa_system_sgpr_workgroup_info 0
		.amdhsa_system_vgpr_workitem_id 0
		.amdhsa_next_free_vgpr 45
		.amdhsa_next_free_sgpr 23
		.amdhsa_reserve_vcc 1
		.amdhsa_float_round_mode_32 0
		.amdhsa_float_round_mode_16_64 0
		.amdhsa_float_denorm_mode_32 3
		.amdhsa_float_denorm_mode_16_64 3
		.amdhsa_dx10_clamp 1
		.amdhsa_ieee_mode 1
		.amdhsa_fp16_overflow 0
		.amdhsa_workgroup_processor_mode 1
		.amdhsa_memory_ordered 1
		.amdhsa_forward_progress 0
		.amdhsa_shared_vgpr_count 0
		.amdhsa_exception_fp_ieee_invalid_op 0
		.amdhsa_exception_fp_denorm_src 0
		.amdhsa_exception_fp_ieee_div_zero 0
		.amdhsa_exception_fp_ieee_overflow 0
		.amdhsa_exception_fp_ieee_underflow 0
		.amdhsa_exception_fp_ieee_inexact 0
		.amdhsa_exception_int_div_zero 0
	.end_amdhsa_kernel
	.section	.text._ZN2at6native12_GLOBAL__N_143distribution_elementwise_grid_stride_kernelIfLi4EZNS0_9templates4cuda21uniform_and_transformIffPNS_17CUDAGeneratorImplEZZZNS4_16geometric_kernelIS7_EEvRNS_18TensorIteratorBaseEdT_ENKUlvE_clEvENKUlvE5_clEvEUlfE_EEvSA_T1_T2_EUlP25hiprandStatePhilox4_32_10E0_ZNS1_27distribution_nullary_kernelIff15HIP_vector_typeIfLj4EES7_SJ_SE_EEvSA_SG_RKT3_T4_EUlifE_EEvlNS_15PhiloxCudaStateESF_SG_,"axG",@progbits,_ZN2at6native12_GLOBAL__N_143distribution_elementwise_grid_stride_kernelIfLi4EZNS0_9templates4cuda21uniform_and_transformIffPNS_17CUDAGeneratorImplEZZZNS4_16geometric_kernelIS7_EEvRNS_18TensorIteratorBaseEdT_ENKUlvE_clEvENKUlvE5_clEvEUlfE_EEvSA_T1_T2_EUlP25hiprandStatePhilox4_32_10E0_ZNS1_27distribution_nullary_kernelIff15HIP_vector_typeIfLj4EES7_SJ_SE_EEvSA_SG_RKT3_T4_EUlifE_EEvlNS_15PhiloxCudaStateESF_SG_,comdat
.Lfunc_end26:
	.size	_ZN2at6native12_GLOBAL__N_143distribution_elementwise_grid_stride_kernelIfLi4EZNS0_9templates4cuda21uniform_and_transformIffPNS_17CUDAGeneratorImplEZZZNS4_16geometric_kernelIS7_EEvRNS_18TensorIteratorBaseEdT_ENKUlvE_clEvENKUlvE5_clEvEUlfE_EEvSA_T1_T2_EUlP25hiprandStatePhilox4_32_10E0_ZNS1_27distribution_nullary_kernelIff15HIP_vector_typeIfLj4EES7_SJ_SE_EEvSA_SG_RKT3_T4_EUlifE_EEvlNS_15PhiloxCudaStateESF_SG_, .Lfunc_end26-_ZN2at6native12_GLOBAL__N_143distribution_elementwise_grid_stride_kernelIfLi4EZNS0_9templates4cuda21uniform_and_transformIffPNS_17CUDAGeneratorImplEZZZNS4_16geometric_kernelIS7_EEvRNS_18TensorIteratorBaseEdT_ENKUlvE_clEvENKUlvE5_clEvEUlfE_EEvSA_T1_T2_EUlP25hiprandStatePhilox4_32_10E0_ZNS1_27distribution_nullary_kernelIff15HIP_vector_typeIfLj4EES7_SJ_SE_EEvSA_SG_RKT3_T4_EUlifE_EEvlNS_15PhiloxCudaStateESF_SG_
                                        ; -- End function
	.section	.AMDGPU.csdata,"",@progbits
; Kernel info:
; codeLenInByte = 4400
; NumSgprs: 25
; NumVgprs: 45
; ScratchSize: 0
; MemoryBound: 0
; FloatMode: 240
; IeeeMode: 1
; LDSByteSize: 0 bytes/workgroup (compile time only)
; SGPRBlocks: 3
; VGPRBlocks: 5
; NumSGPRsForWavesPerEU: 25
; NumVGPRsForWavesPerEU: 45
; Occupancy: 16
; WaveLimiterHint : 0
; COMPUTE_PGM_RSRC2:SCRATCH_EN: 0
; COMPUTE_PGM_RSRC2:USER_SGPR: 15
; COMPUTE_PGM_RSRC2:TRAP_HANDLER: 0
; COMPUTE_PGM_RSRC2:TGID_X_EN: 1
; COMPUTE_PGM_RSRC2:TGID_Y_EN: 0
; COMPUTE_PGM_RSRC2:TGID_Z_EN: 0
; COMPUTE_PGM_RSRC2:TIDIG_COMP_CNT: 0
	.section	.text._ZN2at6native12_GLOBAL__N_143distribution_elementwise_grid_stride_kernelIfLi4EZNS0_9templates4cuda21uniform_and_transformIffPNS_17CUDAGeneratorImplEZZZNS4_16geometric_kernelIS7_EEvRNS_18TensorIteratorBaseEdT_ENKUlvE_clEvENKUlvE5_clEvEUlfE_EEvSA_T1_T2_EUlP25hiprandStatePhilox4_32_10E0_ZNS1_27distribution_nullary_kernelIff15HIP_vector_typeIfLj4EES7_SJ_SE_EEvSA_SG_RKT3_T4_EUlifE0_EEvlNS_15PhiloxCudaStateESF_SG_,"axG",@progbits,_ZN2at6native12_GLOBAL__N_143distribution_elementwise_grid_stride_kernelIfLi4EZNS0_9templates4cuda21uniform_and_transformIffPNS_17CUDAGeneratorImplEZZZNS4_16geometric_kernelIS7_EEvRNS_18TensorIteratorBaseEdT_ENKUlvE_clEvENKUlvE5_clEvEUlfE_EEvSA_T1_T2_EUlP25hiprandStatePhilox4_32_10E0_ZNS1_27distribution_nullary_kernelIff15HIP_vector_typeIfLj4EES7_SJ_SE_EEvSA_SG_RKT3_T4_EUlifE0_EEvlNS_15PhiloxCudaStateESF_SG_,comdat
	.globl	_ZN2at6native12_GLOBAL__N_143distribution_elementwise_grid_stride_kernelIfLi4EZNS0_9templates4cuda21uniform_and_transformIffPNS_17CUDAGeneratorImplEZZZNS4_16geometric_kernelIS7_EEvRNS_18TensorIteratorBaseEdT_ENKUlvE_clEvENKUlvE5_clEvEUlfE_EEvSA_T1_T2_EUlP25hiprandStatePhilox4_32_10E0_ZNS1_27distribution_nullary_kernelIff15HIP_vector_typeIfLj4EES7_SJ_SE_EEvSA_SG_RKT3_T4_EUlifE0_EEvlNS_15PhiloxCudaStateESF_SG_ ; -- Begin function _ZN2at6native12_GLOBAL__N_143distribution_elementwise_grid_stride_kernelIfLi4EZNS0_9templates4cuda21uniform_and_transformIffPNS_17CUDAGeneratorImplEZZZNS4_16geometric_kernelIS7_EEvRNS_18TensorIteratorBaseEdT_ENKUlvE_clEvENKUlvE5_clEvEUlfE_EEvSA_T1_T2_EUlP25hiprandStatePhilox4_32_10E0_ZNS1_27distribution_nullary_kernelIff15HIP_vector_typeIfLj4EES7_SJ_SE_EEvSA_SG_RKT3_T4_EUlifE0_EEvlNS_15PhiloxCudaStateESF_SG_
	.p2align	8
	.type	_ZN2at6native12_GLOBAL__N_143distribution_elementwise_grid_stride_kernelIfLi4EZNS0_9templates4cuda21uniform_and_transformIffPNS_17CUDAGeneratorImplEZZZNS4_16geometric_kernelIS7_EEvRNS_18TensorIteratorBaseEdT_ENKUlvE_clEvENKUlvE5_clEvEUlfE_EEvSA_T1_T2_EUlP25hiprandStatePhilox4_32_10E0_ZNS1_27distribution_nullary_kernelIff15HIP_vector_typeIfLj4EES7_SJ_SE_EEvSA_SG_RKT3_T4_EUlifE0_EEvlNS_15PhiloxCudaStateESF_SG_,@function
_ZN2at6native12_GLOBAL__N_143distribution_elementwise_grid_stride_kernelIfLi4EZNS0_9templates4cuda21uniform_and_transformIffPNS_17CUDAGeneratorImplEZZZNS4_16geometric_kernelIS7_EEvRNS_18TensorIteratorBaseEdT_ENKUlvE_clEvENKUlvE5_clEvEUlfE_EEvSA_T1_T2_EUlP25hiprandStatePhilox4_32_10E0_ZNS1_27distribution_nullary_kernelIff15HIP_vector_typeIfLj4EES7_SJ_SE_EEvSA_SG_RKT3_T4_EUlifE0_EEvlNS_15PhiloxCudaStateESF_SG_: ; @_ZN2at6native12_GLOBAL__N_143distribution_elementwise_grid_stride_kernelIfLi4EZNS0_9templates4cuda21uniform_and_transformIffPNS_17CUDAGeneratorImplEZZZNS4_16geometric_kernelIS7_EEvRNS_18TensorIteratorBaseEdT_ENKUlvE_clEvENKUlvE5_clEvEUlfE_EEvSA_T1_T2_EUlP25hiprandStatePhilox4_32_10E0_ZNS1_27distribution_nullary_kernelIff15HIP_vector_typeIfLj4EES7_SJ_SE_EEvSA_SG_RKT3_T4_EUlifE0_EEvlNS_15PhiloxCudaStateESF_SG_
; %bb.0:
	s_clause 0x2
	s_load_b64 s[4:5], s[0:1], 0x10
	s_load_b128 s[16:19], s[0:1], 0x0
	s_load_b32 s2, s[0:1], 0x20
	s_waitcnt lgkmcnt(0)
	v_dual_mov_b32 v2, s4 :: v_dual_mov_b32 v3, s5
	v_dual_mov_b32 v11, s18 :: v_dual_mov_b32 v12, s19
	s_bitcmp0_b32 s2, 0
	s_mov_b32 s2, 0
	s_cbranch_scc1 .LBB27_2
; %bb.1:
	v_dual_mov_b32 v1, s4 :: v_dual_mov_b32 v2, s5
	v_dual_mov_b32 v4, s18 :: v_dual_mov_b32 v5, s19
	s_load_b64 s[4:5], s[0:1], 0x18
	flat_load_b64 v[2:3], v[1:2]
	flat_load_b64 v[11:12], v[4:5]
	s_waitcnt vmcnt(1) lgkmcnt(0)
	v_add_co_u32 v2, vcc_lo, v2, s4
	v_add_co_ci_u32_e32 v3, vcc_lo, s5, v3, vcc_lo
.LBB27_2:
	s_clause 0x1
	s_load_b32 s3, s[0:1], 0x154
	s_load_b32 s4, s[0:1], 0x148
	s_waitcnt lgkmcnt(0)
	s_and_b32 s5, s3, 0xffff
	s_add_u32 s6, s16, -1
	s_mul_i32 s24, s4, s5
	s_addc_u32 s3, s17, -1
	s_lshl_b32 s25, s24, 2
	s_cmp_lg_u64 s[2:3], 0
	s_cbranch_scc0 .LBB27_79
; %bb.3:
	v_cvt_f32_ubyte0_e32 v1, 0
	v_cvt_f32_u32_e32 v4, s25
	s_sub_u32 s8, 0, s25
	s_subb_u32 s9, 0, 0
	s_delay_alu instid0(VALU_DEP_1) | instskip(NEXT) | instid1(VALU_DEP_1)
	v_fmamk_f32 v1, v1, 0x4f800000, v4
	v_rcp_f32_e32 v1, v1
	s_waitcnt_depctr 0xfff
	v_mul_f32_e32 v1, 0x5f7ffffc, v1
	s_delay_alu instid0(VALU_DEP_1) | instskip(NEXT) | instid1(VALU_DEP_1)
	v_mul_f32_e32 v4, 0x2f800000, v1
	v_trunc_f32_e32 v4, v4
	s_delay_alu instid0(VALU_DEP_1) | instskip(SKIP_1) | instid1(VALU_DEP_2)
	v_fmamk_f32 v1, v4, 0xcf800000, v1
	v_cvt_u32_f32_e32 v4, v4
	v_cvt_u32_f32_e32 v1, v1
	s_delay_alu instid0(VALU_DEP_2) | instskip(NEXT) | instid1(VALU_DEP_2)
	v_readfirstlane_b32 s2, v4
	v_readfirstlane_b32 s7, v1
	s_delay_alu instid0(VALU_DEP_2) | instskip(NEXT) | instid1(VALU_DEP_1)
	s_mul_i32 s10, s8, s2
	s_mul_hi_u32 s12, s8, s7
	s_mul_i32 s11, s9, s7
	s_add_i32 s10, s12, s10
	s_mul_i32 s13, s8, s7
	s_add_i32 s10, s10, s11
	s_mul_hi_u32 s12, s7, s13
	s_mul_hi_u32 s14, s2, s13
	s_mul_i32 s11, s2, s13
	s_mul_hi_u32 s13, s7, s10
	s_mul_i32 s7, s7, s10
	s_mul_hi_u32 s18, s2, s10
	s_add_u32 s7, s12, s7
	s_addc_u32 s12, 0, s13
	s_add_u32 s7, s7, s11
	s_mul_i32 s10, s2, s10
	s_addc_u32 s7, s12, s14
	s_addc_u32 s11, s18, 0
	s_add_u32 s7, s7, s10
	s_addc_u32 s10, 0, s11
	v_add_co_u32 v1, s7, v1, s7
	s_delay_alu instid0(VALU_DEP_1) | instskip(SKIP_1) | instid1(VALU_DEP_1)
	s_cmp_lg_u32 s7, 0
	s_addc_u32 s2, s2, s10
	v_readfirstlane_b32 s7, v1
	s_mul_i32 s10, s8, s2
	s_delay_alu instid0(VALU_DEP_1)
	s_mul_hi_u32 s11, s8, s7
	s_mul_i32 s9, s9, s7
	s_add_i32 s10, s11, s10
	s_mul_i32 s8, s8, s7
	s_add_i32 s10, s10, s9
	s_mul_hi_u32 s11, s2, s8
	s_mul_i32 s12, s2, s8
	s_mul_hi_u32 s8, s7, s8
	s_mul_hi_u32 s13, s7, s10
	s_mul_i32 s7, s7, s10
	s_mul_hi_u32 s9, s2, s10
	s_add_u32 s7, s8, s7
	s_addc_u32 s8, 0, s13
	s_add_u32 s7, s7, s12
	s_mul_i32 s10, s2, s10
	s_addc_u32 s7, s8, s11
	s_addc_u32 s8, s9, 0
	s_add_u32 s7, s7, s10
	s_addc_u32 s8, 0, s8
	v_add_co_u32 v1, s7, v1, s7
	s_delay_alu instid0(VALU_DEP_1) | instskip(SKIP_2) | instid1(VALU_DEP_1)
	s_cmp_lg_u32 s7, 0
	s_addc_u32 s7, s2, s8
	s_ashr_i32 s8, s3, 31
	v_readfirstlane_b32 s10, v1
	s_add_u32 s2, s6, s8
	s_mov_b32 s9, s8
	s_addc_u32 s3, s3, s8
	s_delay_alu instid0(SALU_CYCLE_1) | instskip(NEXT) | instid1(SALU_CYCLE_1)
	s_xor_b64 s[2:3], s[2:3], s[8:9]
	s_mul_i32 s12, s2, s7
	s_mul_hi_u32 s13, s2, s10
	s_mul_hi_u32 s11, s2, s7
	;; [unrolled: 1-line block ×3, first 2 shown]
	s_mul_i32 s10, s3, s10
	s_add_u32 s12, s13, s12
	s_addc_u32 s11, 0, s11
	s_mul_hi_u32 s14, s3, s7
	s_add_u32 s10, s12, s10
	s_mul_i32 s7, s3, s7
	s_addc_u32 s10, s11, s18
	s_addc_u32 s11, s14, 0
	s_add_u32 s7, s10, s7
	s_addc_u32 s10, 0, s11
	s_mul_i32 s12, s25, s7
	s_add_u32 s11, s7, 1
	v_sub_co_u32 v1, s2, s2, s12
	s_mul_hi_u32 s12, s25, s7
	s_addc_u32 s13, s10, 0
	s_mul_i32 s14, s25, s10
	s_delay_alu instid0(VALU_DEP_1)
	v_sub_co_u32 v4, s18, v1, s25
	s_add_u32 s19, s7, 2
	s_addc_u32 s20, s10, 0
	s_add_i32 s12, s12, s14
	s_cmp_lg_u32 s2, 0
	v_readfirstlane_b32 s2, v4
	s_subb_u32 s3, s3, s12
	s_cmp_lg_u32 s18, 0
	s_subb_u32 s12, s3, 0
	s_delay_alu instid0(VALU_DEP_1) | instskip(SKIP_4) | instid1(SALU_CYCLE_1)
	s_cmp_ge_u32 s2, s25
	s_cselect_b32 s2, -1, 0
	s_cmp_eq_u32 s12, 0
	v_readfirstlane_b32 s12, v1
	s_cselect_b32 s2, s2, -1
	s_cmp_lg_u32 s2, 0
	s_cselect_b32 s2, s19, s11
	s_cselect_b32 s11, s20, s13
	s_cmp_ge_u32 s12, s25
	s_cselect_b32 s12, -1, 0
	s_cmp_eq_u32 s3, 0
	s_cselect_b32 s3, s12, -1
	s_delay_alu instid0(SALU_CYCLE_1) | instskip(SKIP_2) | instid1(SALU_CYCLE_1)
	s_cmp_lg_u32 s3, 0
	s_cselect_b32 s3, s11, s10
	s_cselect_b32 s2, s2, s7
	s_xor_b64 s[2:3], s[2:3], s[8:9]
	s_delay_alu instid0(SALU_CYCLE_1)
	s_sub_u32 s2, s2, s8
	s_subb_u32 s3, s3, s8
	s_cbranch_execnz .LBB27_5
.LBB27_4:
	v_cvt_f32_u32_e32 v1, s25
	s_sub_i32 s3, 0, s25
	s_delay_alu instid0(VALU_DEP_1) | instskip(SKIP_2) | instid1(VALU_DEP_1)
	v_rcp_iflag_f32_e32 v1, v1
	s_waitcnt_depctr 0xfff
	v_mul_f32_e32 v1, 0x4f7ffffe, v1
	v_cvt_u32_f32_e32 v1, v1
	s_delay_alu instid0(VALU_DEP_1) | instskip(NEXT) | instid1(VALU_DEP_1)
	v_readfirstlane_b32 s2, v1
	s_mul_i32 s3, s3, s2
	s_delay_alu instid0(SALU_CYCLE_1) | instskip(NEXT) | instid1(SALU_CYCLE_1)
	s_mul_hi_u32 s3, s2, s3
	s_add_i32 s2, s2, s3
	s_delay_alu instid0(SALU_CYCLE_1) | instskip(NEXT) | instid1(SALU_CYCLE_1)
	s_mul_hi_u32 s2, s6, s2
	s_mul_i32 s3, s2, s25
	s_delay_alu instid0(SALU_CYCLE_1)
	s_sub_i32 s3, s6, s3
	s_add_i32 s6, s2, 1
	s_sub_i32 s7, s3, s25
	s_cmp_ge_u32 s3, s25
	s_cselect_b32 s2, s6, s2
	s_cselect_b32 s3, s7, s3
	s_add_i32 s6, s2, 1
	s_cmp_ge_u32 s3, s25
	s_mov_b32 s3, 0
	s_cselect_b32 s2, s6, s2
.LBB27_5:
	v_mov_b32_e32 v1, 0
	s_add_u32 s2, s2, 1
	s_addc_u32 s3, s3, 0
	s_mul_hi_u32 s6, s24, s2
	s_mul_i32 s3, s24, s3
	v_mad_u64_u32 v[13:14], null, s5, s15, v[0:1]
	s_mul_hi_u32 s4, s4, s5
	s_add_i32 s3, s6, s3
	s_mul_i32 s4, s4, s2
	s_mul_i32 s2, s24, s2
	s_add_i32 s3, s3, s4
	s_mov_b32 s4, exec_lo
	s_lshl_b64 s[2:3], s[2:3], 2
	s_delay_alu instid0(SALU_CYCLE_1)
	v_cmpx_gt_i64_e64 s[2:3], v[13:14]
	s_cbranch_execz .LBB27_78
; %bb.6:
	s_load_b128 s[12:15], s[0:1], 0x138
	v_alignbit_b32 v24, v3, v2, 2
	s_waitcnt vmcnt(0)
	v_dual_mov_b32 v38, v12 :: v_dual_add_nc_u32 v19, 0x96a522ad, v12
	v_add_co_u32 v23, null, 0x9e3779b9, v11
	s_load_b256 s[4:11], s[0:1], 0x30
	s_waitcnt lgkmcnt(0)
	s_mov_b32 s11, 0x3e9b6dac
	v_add_co_u32 v26, null, 0x3c6ef372, v11
	v_add_co_u32 v32, null, 0x76cf5d0a, v38
	v_add_co_u32 v22, null, 0xdaa66d2b, v11
	v_add_co_u32 v34, null, 0x32370b8f, v38
	v_add_co_u32 v21, null, 0x1715609d, v11
	v_add_co_u32 v37, null, 0xa9066899, v38
	v_cvt_f32_f64_e32 v9, s[14:15]
	v_add_co_u32 v28, null, 0xb54cda56, v11
	v_add_co_u32 v33, null, 0xdb3d7428, v38
	;; [unrolled: 1-line block ×3, first 2 shown]
	s_add_u32 s18, s0, 48
	v_add_co_u32 v30, null, 0xf1bbcdc8, v11
	s_addc_u32 s19, s1, 0
	s_add_i32 s20, s4, -1
	s_load_b64 s[14:15], s[0:1], 0xf4
	s_cmp_gt_u32 s20, 1
	s_mov_b32 s26, 0
	s_mul_i32 s33, s24, 3
	v_add_nc_u32_e32 v18, 0x8ff34781, v11
	v_sub_f32_e32 v4, 1.0, v9
	s_delay_alu instid0(VALU_DEP_1) | instskip(NEXT) | instid1(VALU_DEP_1)
	v_cvt_f64_f32_e32 v[0:1], v4
	v_frexp_exp_i32_f64_e32 v0, v[0:1]
	v_frexp_mant_f32_e32 v1, v4
	s_delay_alu instid0(VALU_DEP_1) | instskip(NEXT) | instid1(VALU_DEP_3)
	v_cmp_gt_f32_e32 vcc_lo, 0x3f2aaaab, v1
	v_subrev_co_ci_u32_e32 v8, vcc_lo, 0, v0, vcc_lo
	v_add_f32_e32 v0, -1.0, v4
	v_cmp_eq_f32_e32 vcc_lo, 0xff800000, v9
	s_delay_alu instid0(VALU_DEP_3) | instskip(SKIP_1) | instid1(VALU_DEP_4)
	v_sub_nc_u32_e32 v1, 0, v8
	v_cvt_f32_i32_e32 v8, v8
	v_sub_f32_e32 v5, v0, v4
	s_delay_alu instid0(VALU_DEP_3) | instskip(NEXT) | instid1(VALU_DEP_2)
	v_ldexp_f32 v4, v4, v1
	v_add_f32_e32 v5, 1.0, v5
	v_sub_f32_e64 v0, -v9, v0
	s_delay_alu instid0(VALU_DEP_3) | instskip(NEXT) | instid1(VALU_DEP_1)
	v_add_f32_e32 v6, 1.0, v4
	v_dual_add_f32 v0, v0, v5 :: v_dual_add_f32 v5, -1.0, v6
	s_delay_alu instid0(VALU_DEP_1) | instskip(SKIP_1) | instid1(VALU_DEP_3)
	v_ldexp_f32 v0, v0, v1
	v_add_f32_e32 v1, -1.0, v4
	v_sub_f32_e32 v5, v4, v5
	s_delay_alu instid0(VALU_DEP_2) | instskip(NEXT) | instid1(VALU_DEP_2)
	v_add_f32_e32 v7, 1.0, v1
	v_add_f32_e32 v5, v0, v5
	s_delay_alu instid0(VALU_DEP_2) | instskip(NEXT) | instid1(VALU_DEP_1)
	v_sub_f32_e32 v4, v4, v7
	v_add_f32_e32 v0, v0, v4
	s_delay_alu instid0(VALU_DEP_1) | instskip(NEXT) | instid1(VALU_DEP_1)
	v_dual_add_f32 v4, v1, v0 :: v_dual_add_f32 v7, v6, v5
	v_sub_f32_e32 v1, v4, v1
	s_delay_alu instid0(VALU_DEP_2) | instskip(SKIP_1) | instid1(VALU_DEP_1)
	v_rcp_f32_e32 v10, v7
	v_sub_f32_e32 v6, v7, v6
	v_dual_sub_f32 v0, v0, v1 :: v_dual_sub_f32 v5, v5, v6
	s_waitcnt_depctr 0xfff
	v_mul_f32_e32 v15, v4, v10
	s_delay_alu instid0(VALU_DEP_1) | instskip(NEXT) | instid1(VALU_DEP_1)
	v_mul_f32_e32 v16, v7, v15
	v_fma_f32 v6, v15, v7, -v16
	s_delay_alu instid0(VALU_DEP_1) | instskip(NEXT) | instid1(VALU_DEP_1)
	v_fmac_f32_e32 v6, v15, v5
	v_add_f32_e32 v17, v16, v6
	s_delay_alu instid0(VALU_DEP_1) | instskip(NEXT) | instid1(VALU_DEP_1)
	v_sub_f32_e32 v25, v4, v17
	v_dual_sub_f32 v1, v17, v16 :: v_dual_sub_f32 v4, v4, v25
	s_delay_alu instid0(VALU_DEP_1) | instskip(NEXT) | instid1(VALU_DEP_1)
	v_dual_sub_f32 v1, v1, v6 :: v_dual_sub_f32 v4, v4, v17
	v_dual_add_f32 v0, v0, v4 :: v_dual_and_b32 v17, 3, v2
	s_delay_alu instid0(VALU_DEP_1) | instskip(SKIP_1) | instid1(VALU_DEP_2)
	v_add_f32_e32 v4, v1, v0
	v_mad_u64_u32 v[0:1], null, 0xcd9e8d57, v13, 0
	v_add_f32_e32 v6, v25, v4
	s_delay_alu instid0(VALU_DEP_1) | instskip(SKIP_2) | instid1(VALU_DEP_3)
	v_mul_f32_e32 v16, v10, v6
	v_sub_f32_e32 v2, v25, v6
	v_lshrrev_b32_e32 v25, 2, v3
	v_mul_f32_e32 v27, v7, v16
	v_add_f32_e32 v36, v15, v16
	s_delay_alu instid0(VALU_DEP_3) | instskip(SKIP_1) | instid1(VALU_DEP_4)
	v_xor3_b32 v1, v11, v1, v25
	v_add_f32_e32 v4, v4, v2
	v_fma_f32 v7, v16, v7, -v27
	s_delay_alu instid0(VALU_DEP_1) | instskip(NEXT) | instid1(VALU_DEP_1)
	v_fmac_f32_e32 v7, v16, v5
	v_add_f32_e32 v5, v27, v7
	s_delay_alu instid0(VALU_DEP_1) | instskip(NEXT) | instid1(VALU_DEP_1)
	v_sub_f32_e32 v29, v6, v5
	v_dual_sub_f32 v3, v6, v29 :: v_dual_sub_f32 v6, v5, v27
	v_add_co_u32 v27, null, 0x78dde6e4, v11
	s_delay_alu instid0(VALU_DEP_2) | instskip(SKIP_2) | instid1(VALU_DEP_3)
	v_dual_sub_f32 v5, v3, v5 :: v_dual_sub_f32 v6, v6, v7
	v_mad_u64_u32 v[2:3], null, 0xd2511f53, v24, 0
	v_sub_f32_e32 v7, v36, v15
	v_add_f32_e32 v4, v4, v5
	s_delay_alu instid0(VALU_DEP_3) | instskip(NEXT) | instid1(VALU_DEP_2)
	v_xor_b32_e32 v5, v3, v12
	v_add_f32_e32 v6, v6, v4
	v_mad_u64_u32 v[3:4], null, 0xd2511f53, v1, 0
	s_delay_alu instid0(VALU_DEP_3) | instskip(NEXT) | instid1(VALU_DEP_3)
	v_xor_b32_e32 v1, v5, v14
	v_add_f32_e32 v15, v29, v6
	v_add_co_u32 v29, null, 0xbb67ae85, v38
	s_delay_alu instid0(VALU_DEP_3) | instskip(SKIP_1) | instid1(VALU_DEP_4)
	v_mad_u64_u32 v[5:6], null, 0xcd9e8d57, v1, 0
	v_sub_f32_e32 v1, v16, v7
	v_mul_f32_e32 v7, v10, v15
	s_delay_alu instid0(VALU_DEP_4) | instskip(NEXT) | instid1(VALU_DEP_4)
	v_xor3_b32 v4, v29, v4, v2
	v_xor3_b32 v0, v23, v6, v0
	s_delay_alu instid0(VALU_DEP_3) | instskip(NEXT) | instid1(VALU_DEP_3)
	v_add_f32_e32 v10, v1, v7
	v_mad_u64_u32 v[1:2], null, 0xcd9e8d57, v4, 0
	s_delay_alu instid0(VALU_DEP_3) | instskip(NEXT) | instid1(VALU_DEP_3)
	v_mad_u64_u32 v[6:7], null, 0xd2511f53, v0, 0
	v_add_f32_e32 v15, v36, v10
	v_mov_b32_e32 v31, v13
	s_delay_alu instid0(VALU_DEP_4) | instskip(NEXT) | instid1(VALU_DEP_3)
	v_xor3_b32 v2, v26, v2, v5
	v_mul_f32_e32 v0, v15, v15
	v_xor3_b32 v7, v32, v7, v3
	s_delay_alu instid0(VALU_DEP_3) | instskip(NEXT) | instid1(VALU_DEP_3)
	v_mad_u64_u32 v[4:5], null, 0xd2511f53, v2, 0
	v_fmaak_f32 v16, s11, v0, 0x3ecc95a3
	s_delay_alu instid0(VALU_DEP_3) | instskip(SKIP_2) | instid1(VALU_DEP_3)
	v_mad_u64_u32 v[2:3], null, 0xcd9e8d57, v7, 0
	v_mul_f32_e32 v35, v15, v0
	s_cselect_b32 s11, -1, 0
	v_fmaak_f32 v0, v0, v16, 0x3f2aaada
	s_cmp_lg_u32 s4, 0
	s_cselect_b32 s27, -1, 0
	s_delay_alu instid0(VALU_DEP_3) | instskip(NEXT) | instid1(VALU_DEP_2)
	v_xor3_b32 v3, v22, v3, v1
	v_mul_f32_e32 v16, v35, v0
	v_xor3_b32 v0, v34, v5, v6
	v_mul_f32_e32 v40, 0x3f317218, v8
	v_ldexp_f32 v7, v15, 1
	v_add_co_u32 v35, null, 0x646e171e, v38
	s_delay_alu instid0(VALU_DEP_4)
	v_mad_u64_u32 v[5:6], null, 0xcd9e8d57, v0, 0
	v_mad_u64_u32 v[0:1], null, 0xd2511f53, v3, 0
	v_fma_f32 v3, 0x3f317218, v8, -v40
	v_sub_f32_e32 v15, v15, v36
	v_add_co_u32 v36, null, 0xed9eba14, v38
	v_xor3_b32 v6, v27, v6, v2
	s_delay_alu instid0(VALU_DEP_4) | instskip(NEXT) | instid1(VALU_DEP_4)
	v_dual_fmamk_f32 v8, v8, 0xb102e308, v3 :: v_dual_add_f32 v39, v7, v16
	v_sub_f32_e32 v10, v10, v15
	s_delay_alu instid0(VALU_DEP_4) | instskip(NEXT) | instid1(VALU_DEP_4)
	v_xor3_b32 v1, v36, v1, v4
	v_mad_u64_u32 v[2:3], null, 0xd2511f53, v6, 0
	s_delay_alu instid0(VALU_DEP_4) | instskip(NEXT) | instid1(VALU_DEP_4)
	v_sub_f32_e32 v7, v39, v7
	v_ldexp_f32 v10, v10, 1
	v_add_co_u32 v38, null, 0x1fd5c5a3, v38
	s_add_u32 s0, s0, 0xf4
	s_delay_alu instid0(VALU_DEP_3)
	v_sub_f32_e32 v7, v16, v7
	v_add_f32_e32 v15, v40, v8
	v_xor3_b32 v3, v37, v3, v0
	s_addc_u32 s1, s1, 0
	s_min_u32 s21, s20, 15
	v_add_f32_e32 v10, v10, v7
	v_mad_u64_u32 v[6:7], null, 0xcd9e8d57, v1, 0
	v_mad_u64_u32 v[0:1], null, 0xcd9e8d57, v3, 0
	s_cmp_gt_u32 s4, 1
	s_cselect_b32 s4, -1, 0
	s_add_i32 s21, s21, 1
	s_delay_alu instid0(VALU_DEP_2) | instskip(SKIP_2) | instid1(VALU_DEP_4)
	v_xor3_b32 v5, v21, v7, v5
	v_sub_f32_e32 v7, v15, v40
	v_add_f32_e32 v16, v39, v10
	v_xor3_b32 v6, v28, v1, v6
	s_lshl_b32 s28, s24, 1
	v_mad_u64_u32 v[3:4], null, 0xd2511f53, v5, 0
	v_sub_f32_e32 v7, v8, v7
	v_sub_f32_e32 v39, v16, v39
	v_add_f32_e32 v41, v15, v16
	s_and_b32 s29, s21, 3
	s_cmp_lg_u32 s20, 2
	v_cmp_gt_f32_e64 s20, 0x33800000, |v9|
	v_sub_f32_e32 v8, v10, v39
	v_sub_f32_e32 v42, v41, v15
	s_cselect_b32 s30, -1, 0
	s_and_b32 s31, s21, 28
	s_cmp_lg_u32 s29, 0
	s_delay_alu instid0(VALU_DEP_1) | instskip(SKIP_1) | instid1(VALU_DEP_1)
	v_sub_f32_e32 v40, v41, v42
	s_cselect_b32 s34, -1, 0
	v_sub_f32_e32 v10, v15, v40
	v_add_f32_e32 v15, v7, v8
	v_dual_sub_f32 v5, v16, v42 :: v_dual_mov_b32 v40, v14
	s_delay_alu instid0(VALU_DEP_1) | instskip(SKIP_2) | instid1(VALU_DEP_3)
	v_dual_sub_f32 v16, v15, v7 :: v_dual_add_f32 v5, v5, v10
	v_xor3_b32 v10, v35, v4, v2
	v_mad_u64_u32 v[1:2], null, 0xd2511f53, v6, 0
	v_sub_f32_e32 v6, v15, v16
	s_delay_alu instid0(VALU_DEP_4) | instskip(NEXT) | instid1(VALU_DEP_4)
	v_dual_add_f32 v39, v15, v5 :: v_dual_sub_f32 v8, v8, v16
	v_mad_u64_u32 v[4:5], null, 0xcd9e8d57, v10, 0
	s_delay_alu instid0(VALU_DEP_3) | instskip(NEXT) | instid1(VALU_DEP_3)
	v_sub_f32_e32 v6, v7, v6
	v_add_f32_e32 v10, v41, v39
	v_xor3_b32 v2, v38, v2, v3
	s_delay_alu instid0(VALU_DEP_3) | instskip(NEXT) | instid1(VALU_DEP_3)
	v_add_f32_e32 v3, v8, v6
	v_sub_f32_e32 v7, v10, v41
	v_xor3_b32 v0, v20, v5, v0
	s_delay_alu instid0(VALU_DEP_4) | instskip(NEXT) | instid1(VALU_DEP_3)
	v_mad_u64_u32 v[5:6], null, 0xcd9e8d57, v2, 0
	v_sub_f32_e32 v15, v39, v7
	s_delay_alu instid0(VALU_DEP_3) | instskip(NEXT) | instid1(VALU_DEP_2)
	v_mad_u64_u32 v[7:8], null, 0xd2511f53, v0, 0
	v_add_f32_e32 v0, v3, v15
	s_delay_alu instid0(VALU_DEP_4) | instskip(NEXT) | instid1(VALU_DEP_3)
	v_xor3_b32 v2, v30, v6, v4
	v_xor3_b32 v6, v33, v8, v1
	s_delay_alu instid0(VALU_DEP_3) | instskip(NEXT) | instid1(VALU_DEP_3)
	v_add_f32_e32 v0, v10, v0
	v_mad_u64_u32 v[3:4], null, 0xd2511f53, v2, 0
	s_delay_alu instid0(VALU_DEP_3) | instskip(NEXT) | instid1(VALU_DEP_3)
	v_mad_u64_u32 v[1:2], null, 0xcd9e8d57, v6, 0
	v_cndmask_b32_e64 v0, v0, -v9, vcc_lo
	v_cmp_nlt_f32_e32 vcc_lo, 1.0, v9
	s_delay_alu instid0(VALU_DEP_2) | instskip(SKIP_1) | instid1(VALU_DEP_2)
	v_cndmask_b32_e32 v0, 0x7fc00000, v0, vcc_lo
	v_cmp_neq_f32_e32 vcc_lo, 1.0, v9
	v_cndmask_b32_e32 v6, 0xff800000, v0, vcc_lo
	v_xor3_b32 v0, v2, v5, v18
	v_xor3_b32 v2, v4, v7, v19
	s_delay_alu instid0(VALU_DEP_3)
	v_cndmask_b32_e64 v39, v6, -v9, s20
	s_branch .LBB27_9
.LBB27_7:                               ;   in Loop: Header=BB27_9 Depth=1
	v_cvt_f32_u32_e32 v0, v3
	s_delay_alu instid0(VALU_DEP_1) | instskip(NEXT) | instid1(VALU_DEP_1)
	v_fmaak_f32 v0, 0x2f800000, v0, 0x2f800000
	v_cmp_gt_f32_e32 vcc_lo, 0x800000, v0
	v_cndmask_b32_e64 v2, 1.0, 0x4f800000, vcc_lo
	s_delay_alu instid0(VALU_DEP_1) | instskip(NEXT) | instid1(VALU_DEP_1)
	v_mul_f32_e32 v0, v0, v2
	v_log_f32_e32 v0, v0
	s_waitcnt_depctr 0xfff
	v_mul_f32_e32 v2, 0x3f317217, v0
	s_delay_alu instid0(VALU_DEP_1) | instskip(NEXT) | instid1(VALU_DEP_1)
	v_fma_f32 v3, 0x3f317217, v0, -v2
	v_fmac_f32_e32 v3, 0x3377d1cf, v0
	s_delay_alu instid0(VALU_DEP_1) | instskip(SKIP_2) | instid1(VALU_DEP_3)
	v_add_f32_e32 v2, v2, v3
	v_cndmask_b32_e64 v3, 0, 0x41b17218, vcc_lo
	v_cmp_gt_f32_e64 vcc_lo, 0x7f800000, |v0|
	v_cndmask_b32_e32 v0, v0, v2, vcc_lo
	s_delay_alu instid0(VALU_DEP_1) | instskip(NEXT) | instid1(VALU_DEP_1)
	v_sub_f32_e32 v0, v0, v3
	v_div_scale_f32 v2, null, v39, v39, v0
	s_delay_alu instid0(VALU_DEP_1) | instskip(SKIP_2) | instid1(VALU_DEP_1)
	v_rcp_f32_e32 v3, v2
	s_waitcnt_depctr 0xfff
	v_fma_f32 v7, -v2, v3, 1.0
	v_fmac_f32_e32 v3, v7, v3
	v_div_scale_f32 v7, vcc_lo, v0, v39, v0
	s_delay_alu instid0(VALU_DEP_1) | instskip(NEXT) | instid1(VALU_DEP_1)
	v_mul_f32_e32 v8, v7, v3
	v_fma_f32 v9, -v2, v8, v7
	s_delay_alu instid0(VALU_DEP_1) | instskip(NEXT) | instid1(VALU_DEP_1)
	v_fmac_f32_e32 v8, v9, v3
	v_fma_f32 v2, -v2, v8, v7
	s_delay_alu instid0(VALU_DEP_1) | instskip(NEXT) | instid1(VALU_DEP_1)
	v_div_fmas_f32 v2, v2, v3, v8
	v_div_fixup_f32 v0, v2, v39, v0
	s_delay_alu instid0(VALU_DEP_1)
	v_ceil_f32_e32 v0, v0
	global_store_b32 v1, v0, s[12:13]
.LBB27_8:                               ;   in Loop: Header=BB27_9 Depth=1
	s_or_b32 exec_lo, exec_lo, s35
	v_add_co_u32 v13, vcc_lo, v13, s25
	v_add_co_ci_u32_e32 v14, vcc_lo, 0, v14, vcc_lo
	v_mov_b32_e32 v7, v15
	v_dual_mov_b32 v0, v4 :: v_dual_mov_b32 v1, v5
	s_delay_alu instid0(VALU_DEP_3) | instskip(NEXT) | instid1(VALU_DEP_3)
	v_cmp_le_i64_e32 vcc_lo, s[2:3], v[13:14]
	v_dual_mov_b32 v2, v6 :: v_dual_mov_b32 v3, v7
	s_waitcnt lgkmcnt(0)
	s_waitcnt_vscnt null, 0x0
	s_barrier
	buffer_gl0_inv
	s_or_b32 s26, vcc_lo, s26
	s_delay_alu instid0(SALU_CYCLE_1)
	s_and_not1_b32 exec_lo, exec_lo, s26
	s_cbranch_execz .LBB27_78
.LBB27_9:                               ; =>This Loop Header: Depth=1
                                        ;     Child Loop BB27_24 Depth 2
                                        ;     Child Loop BB27_29 Depth 2
	;; [unrolled: 1-line block ×8, first 2 shown]
	v_add_co_u32 v24, vcc_lo, v24, 1
	s_delay_alu instid0(VALU_DEP_1) | instskip(SKIP_2) | instid1(VALU_DEP_1)
	v_cndmask_b32_e64 v4, 0, 1, vcc_lo
	v_add_co_ci_u32_e32 v25, vcc_lo, 0, v25, vcc_lo
	s_mov_b32 s20, exec_lo
	v_cmp_eq_u32_e32 vcc_lo, 0, v25
	s_delay_alu instid0(VALU_DEP_3) | instskip(NEXT) | instid1(VALU_DEP_1)
	v_cndmask_b32_e32 v4, 0, v4, vcc_lo
	v_add_nc_u32_e32 v31, v4, v31
	s_delay_alu instid0(VALU_DEP_1) | instskip(SKIP_2) | instid1(VALU_DEP_2)
	v_cmp_eq_u32_e32 vcc_lo, 0, v31
	v_cndmask_b32_e32 v4, 0, v4, vcc_lo
	v_mad_u64_u32 v[6:7], null, 0xcd9e8d57, v31, 0
	v_add_nc_u32_e32 v40, v4, v40
	v_mad_u64_u32 v[4:5], null, 0xd2511f53, v24, 0
	s_delay_alu instid0(VALU_DEP_3) | instskip(NEXT) | instid1(VALU_DEP_2)
	v_xor3_b32 v9, v7, v11, v25
	v_xor_b32_e32 v5, v5, v12
	s_delay_alu instid0(VALU_DEP_2) | instskip(NEXT) | instid1(VALU_DEP_2)
	v_mad_u64_u32 v[7:8], null, 0xd2511f53, v9, 0
	v_xor_b32_e32 v5, v40, v5
	s_delay_alu instid0(VALU_DEP_2) | instskip(NEXT) | instid1(VALU_DEP_2)
	v_xor3_b32 v8, v29, v8, v4
	v_mad_u64_u32 v[9:10], null, 0xcd9e8d57, v5, 0
	s_delay_alu instid0(VALU_DEP_2) | instskip(NEXT) | instid1(VALU_DEP_2)
	v_mad_u64_u32 v[4:5], null, 0xcd9e8d57, v8, 0
	v_xor3_b32 v6, v23, v10, v6
	s_delay_alu instid0(VALU_DEP_2) | instskip(NEXT) | instid1(VALU_DEP_2)
	v_xor3_b32 v8, v26, v5, v9
	v_mad_u64_u32 v[15:16], null, 0xd2511f53, v6, 0
	s_delay_alu instid0(VALU_DEP_2) | instskip(NEXT) | instid1(VALU_DEP_2)
	v_mad_u64_u32 v[5:6], null, 0xd2511f53, v8, 0
	v_xor3_b32 v9, v32, v16, v7
	s_delay_alu instid0(VALU_DEP_2) | instskip(NEXT) | instid1(VALU_DEP_2)
	v_xor3_b32 v6, v34, v6, v15
	v_mad_u64_u32 v[7:8], null, 0xcd9e8d57, v9, 0
	s_delay_alu instid0(VALU_DEP_1) | instskip(NEXT) | instid1(VALU_DEP_3)
	v_xor3_b32 v4, v22, v8, v4
	v_mad_u64_u32 v[8:9], null, 0xcd9e8d57, v6, 0
	s_delay_alu instid0(VALU_DEP_2) | instskip(NEXT) | instid1(VALU_DEP_2)
	v_mad_u64_u32 v[15:16], null, 0xd2511f53, v4, 0
	v_xor3_b32 v6, v27, v9, v7
	s_delay_alu instid0(VALU_DEP_2) | instskip(NEXT) | instid1(VALU_DEP_2)
	v_xor3_b32 v9, v36, v16, v5
	v_mad_u64_u32 v[4:5], null, 0xd2511f53, v6, 0
	s_delay_alu instid0(VALU_DEP_2) | instskip(NEXT) | instid1(VALU_DEP_2)
	v_mad_u64_u32 v[6:7], null, 0xcd9e8d57, v9, 0
	v_xor3_b32 v5, v37, v5, v15
	s_delay_alu instid0(VALU_DEP_2) | instskip(NEXT) | instid1(VALU_DEP_2)
	;; [unrolled: 6-line block ×6, first 2 shown]
	v_xor3_b32 v4, v6, v7, v18
	v_mov_b32_e32 v6, v10
	v_cmpx_lt_i32_e32 1, v17
	s_xor_b32 s20, exec_lo, s20
	s_cbranch_execnz .LBB27_12
; %bb.10:                               ;   in Loop: Header=BB27_9 Depth=1
	s_and_not1_saveexec_b32 s20, s20
	s_cbranch_execnz .LBB27_17
.LBB27_11:                              ;   in Loop: Header=BB27_9 Depth=1
	s_or_b32 exec_lo, exec_lo, s20
	s_delay_alu instid0(SALU_CYCLE_1)
	s_mov_b32 s35, exec_lo
	v_cmpx_gt_i64_e64 s[16:17], v[13:14]
	s_cbranch_execnz .LBB27_20
	s_branch .LBB27_34
.LBB27_12:                              ;   in Loop: Header=BB27_9 Depth=1
	s_mov_b32 s21, exec_lo
	v_cmpx_lt_i32_e32 2, v17
	s_xor_b32 s21, exec_lo, s21
; %bb.13:                               ;   in Loop: Header=BB27_9 Depth=1
	v_dual_mov_b32 v7, v3 :: v_dual_mov_b32 v8, v4
	v_mov_b32_e32 v9, v5
	s_delay_alu instid0(VALU_DEP_2) | instskip(NEXT) | instid1(VALU_DEP_2)
	v_dual_mov_b32 v0, v7 :: v_dual_mov_b32 v1, v8
	v_dual_mov_b32 v2, v9 :: v_dual_mov_b32 v3, v10
; %bb.14:                               ;   in Loop: Header=BB27_9 Depth=1
	s_and_not1_saveexec_b32 s21, s21
; %bb.15:                               ;   in Loop: Header=BB27_9 Depth=1
	s_delay_alu instid0(VALU_DEP_1)
	v_dual_mov_b32 v0, v2 :: v_dual_mov_b32 v1, v3
	v_dual_mov_b32 v2, v4 :: v_dual_mov_b32 v3, v5
; %bb.16:                               ;   in Loop: Header=BB27_9 Depth=1
	s_or_b32 exec_lo, exec_lo, s21
	s_and_not1_saveexec_b32 s20, s20
	s_cbranch_execz .LBB27_11
.LBB27_17:                              ;   in Loop: Header=BB27_9 Depth=1
	s_mov_b32 s21, exec_lo
	v_cmpx_eq_u32_e32 1, v17
; %bb.18:                               ;   in Loop: Header=BB27_9 Depth=1
	v_dual_mov_b32 v0, v1 :: v_dual_mov_b32 v1, v2
	v_dual_mov_b32 v2, v3 :: v_dual_mov_b32 v3, v4
; %bb.19:                               ;   in Loop: Header=BB27_9 Depth=1
	s_or_b32 exec_lo, exec_lo, s21
	s_delay_alu instid0(SALU_CYCLE_1) | instskip(NEXT) | instid1(SALU_CYCLE_1)
	s_or_b32 exec_lo, exec_lo, s20
	s_mov_b32 s35, exec_lo
	v_cmpx_gt_i64_e64 s[16:17], v[13:14]
	s_cbranch_execz .LBB27_34
.LBB27_20:                              ;   in Loop: Header=BB27_9 Depth=1
	s_and_not1_b32 vcc_lo, exec_lo, s11
	s_cbranch_vccnz .LBB27_26
; %bb.21:                               ;   in Loop: Header=BB27_9 Depth=1
	v_mov_b32_e32 v7, 0
	s_and_not1_b32 vcc_lo, exec_lo, s27
	s_cbranch_vccnz .LBB27_30
; %bb.22:                               ;   in Loop: Header=BB27_9 Depth=1
	s_and_not1_b32 vcc_lo, exec_lo, s30
	s_mov_b32 s20, 0
	s_cbranch_vccnz .LBB27_27
; %bb.23:                               ;   in Loop: Header=BB27_9 Depth=1
	v_dual_mov_b32 v7, 0 :: v_dual_mov_b32 v8, v13
	s_mov_b32 s36, 0
	s_mov_b64 s[20:21], s[18:19]
	s_mov_b64 s[22:23], s[0:1]
.LBB27_24:                              ;   Parent Loop BB27_9 Depth=1
                                        ; =>  This Inner Loop Header: Depth=2
	s_clause 0x1
	s_load_b256 s[40:47], s[20:21], 0x4
	s_load_b128 s[48:51], s[20:21], 0x24
	s_load_b128 s[52:55], s[22:23], 0x0
	s_add_u32 s20, s20, 48
	s_addc_u32 s21, s21, 0
	s_add_i32 s36, s36, 4
	s_add_u32 s22, s22, 16
	s_addc_u32 s23, s23, 0
	s_cmp_lg_u32 s31, s36
	s_waitcnt lgkmcnt(0)
	v_mul_hi_u32 v9, s41, v8
	s_delay_alu instid0(VALU_DEP_1) | instskip(NEXT) | instid1(VALU_DEP_1)
	v_add_nc_u32_e32 v9, v8, v9
	v_lshrrev_b32_e32 v9, s42, v9
	s_delay_alu instid0(VALU_DEP_1) | instskip(SKIP_1) | instid1(VALU_DEP_2)
	v_mul_hi_u32 v10, s44, v9
	v_mul_lo_u32 v42, v9, s40
	v_add_nc_u32_e32 v10, v9, v10
	s_delay_alu instid0(VALU_DEP_2) | instskip(NEXT) | instid1(VALU_DEP_2)
	v_sub_nc_u32_e32 v42, v8, v42
	v_lshrrev_b32_e32 v10, s45, v10
	s_delay_alu instid0(VALU_DEP_2) | instskip(NEXT) | instid1(VALU_DEP_2)
	v_mul_lo_u32 v42, v42, s52
	v_mul_hi_u32 v16, s47, v10
	v_mul_lo_u32 v43, v10, s43
	s_delay_alu instid0(VALU_DEP_2) | instskip(NEXT) | instid1(VALU_DEP_2)
	v_add_nc_u32_e32 v16, v10, v16
	v_sub_nc_u32_e32 v9, v9, v43
	s_delay_alu instid0(VALU_DEP_2) | instskip(NEXT) | instid1(VALU_DEP_2)
	v_lshrrev_b32_e32 v16, s48, v16
	v_mul_lo_u32 v9, v9, s53
	s_delay_alu instid0(VALU_DEP_2) | instskip(NEXT) | instid1(VALU_DEP_2)
	v_mul_hi_u32 v41, s50, v16
	v_add3_u32 v7, v42, v7, v9
	s_delay_alu instid0(VALU_DEP_2) | instskip(NEXT) | instid1(VALU_DEP_1)
	v_add_nc_u32_e32 v41, v16, v41
	v_lshrrev_b32_e32 v8, s51, v41
	v_mul_lo_u32 v41, v16, s46
	s_delay_alu instid0(VALU_DEP_2) | instskip(NEXT) | instid1(VALU_DEP_2)
	v_mul_lo_u32 v44, v8, s49
	v_sub_nc_u32_e32 v10, v10, v41
	s_delay_alu instid0(VALU_DEP_2) | instskip(NEXT) | instid1(VALU_DEP_2)
	v_sub_nc_u32_e32 v16, v16, v44
	v_mul_lo_u32 v10, v10, s54
	s_delay_alu instid0(VALU_DEP_2) | instskip(NEXT) | instid1(VALU_DEP_1)
	v_mul_lo_u32 v16, v16, s55
	v_add3_u32 v7, v10, v7, v16
	s_cbranch_scc1 .LBB27_24
; %bb.25:                               ;   in Loop: Header=BB27_9 Depth=1
	s_mov_b32 s20, s31
	s_and_not1_b32 vcc_lo, exec_lo, s34
	s_cbranch_vccz .LBB27_28
	s_branch .LBB27_30
.LBB27_26:                              ;   in Loop: Header=BB27_9 Depth=1
                                        ; implicit-def: $vgpr7
	s_branch .LBB27_31
.LBB27_27:                              ;   in Loop: Header=BB27_9 Depth=1
	v_mov_b32_e32 v8, v13
	s_and_not1_b32 vcc_lo, exec_lo, s34
	s_cbranch_vccnz .LBB27_30
.LBB27_28:                              ;   in Loop: Header=BB27_9 Depth=1
	s_lshl_b32 s21, s20, 2
	s_mul_i32 s22, s20, 12
	s_add_u32 s20, s0, s21
	s_addc_u32 s21, s1, 0
	s_add_u32 s22, s18, s22
	s_addc_u32 s23, s19, 0
	s_mov_b32 s36, s29
	.p2align	6
.LBB27_29:                              ;   Parent Loop BB27_9 Depth=1
                                        ; =>  This Inner Loop Header: Depth=2
	s_clause 0x1
	s_load_b64 s[38:39], s[22:23], 0x4
	s_load_b32 s37, s[22:23], 0xc
	s_add_u32 s22, s22, 12
	s_addc_u32 s23, s23, 0
	s_waitcnt lgkmcnt(0)
	v_mul_hi_u32 v9, s39, v8
	s_load_b32 s39, s[20:21], 0x0
	s_add_u32 s20, s20, 4
	s_addc_u32 s21, s21, 0
	s_add_i32 s36, s36, -1
	s_delay_alu instid0(SALU_CYCLE_1) | instskip(NEXT) | instid1(VALU_DEP_1)
	s_cmp_lg_u32 s36, 0
	v_add_nc_u32_e32 v9, v8, v9
	s_delay_alu instid0(VALU_DEP_1) | instskip(NEXT) | instid1(VALU_DEP_1)
	v_lshrrev_b32_e32 v16, s37, v9
	v_mul_lo_u32 v9, v16, s38
	s_delay_alu instid0(VALU_DEP_1) | instskip(SKIP_1) | instid1(VALU_DEP_1)
	v_sub_nc_u32_e32 v8, v8, v9
	s_waitcnt lgkmcnt(0)
	v_mad_u64_u32 v[9:10], null, v8, s39, v[7:8]
	s_delay_alu instid0(VALU_DEP_1)
	v_dual_mov_b32 v8, v16 :: v_dual_mov_b32 v7, v9
	s_cbranch_scc1 .LBB27_29
.LBB27_30:                              ;   in Loop: Header=BB27_9 Depth=1
	s_cbranch_execnz .LBB27_33
.LBB27_31:                              ;   in Loop: Header=BB27_9 Depth=1
	v_mul_hi_u32 v7, v13, s6
	s_and_not1_b32 vcc_lo, exec_lo, s4
	s_delay_alu instid0(VALU_DEP_1) | instskip(NEXT) | instid1(VALU_DEP_1)
	v_add_nc_u32_e32 v7, v7, v13
	v_lshrrev_b32_e32 v8, s7, v7
	s_delay_alu instid0(VALU_DEP_1) | instskip(NEXT) | instid1(VALU_DEP_1)
	v_mul_lo_u32 v7, v8, s5
	v_sub_nc_u32_e32 v7, v13, v7
	s_waitcnt lgkmcnt(0)
	s_delay_alu instid0(VALU_DEP_1)
	v_mul_lo_u32 v7, v7, s14
	s_cbranch_vccnz .LBB27_33
; %bb.32:                               ;   in Loop: Header=BB27_9 Depth=1
	v_mul_hi_u32 v9, s9, v8
	s_delay_alu instid0(VALU_DEP_1) | instskip(NEXT) | instid1(VALU_DEP_1)
	v_add_nc_u32_e32 v9, v8, v9
	v_lshrrev_b32_e32 v9, s10, v9
	s_delay_alu instid0(VALU_DEP_1) | instskip(NEXT) | instid1(VALU_DEP_1)
	v_mul_lo_u32 v9, v9, s8
	v_sub_nc_u32_e32 v10, v8, v9
	s_delay_alu instid0(VALU_DEP_1) | instskip(NEXT) | instid1(VALU_DEP_1)
	v_mad_u64_u32 v[8:9], null, v10, s15, v[7:8]
	v_mov_b32_e32 v7, v8
.LBB27_33:                              ;   in Loop: Header=BB27_9 Depth=1
	v_cvt_f32_u32_e32 v0, v0
	s_delay_alu instid0(VALU_DEP_1) | instskip(NEXT) | instid1(VALU_DEP_1)
	v_fmaak_f32 v0, 0x2f800000, v0, 0x2f800000
	v_cmp_gt_f32_e32 vcc_lo, 0x800000, v0
	v_cndmask_b32_e64 v8, 1.0, 0x4f800000, vcc_lo
	s_delay_alu instid0(VALU_DEP_1) | instskip(NEXT) | instid1(VALU_DEP_1)
	v_mul_f32_e32 v0, v0, v8
	v_log_f32_e32 v0, v0
	s_waitcnt_depctr 0xfff
	v_mul_f32_e32 v8, 0x3f317217, v0
	s_delay_alu instid0(VALU_DEP_1) | instskip(NEXT) | instid1(VALU_DEP_1)
	v_fma_f32 v9, 0x3f317217, v0, -v8
	v_fmac_f32_e32 v9, 0x3377d1cf, v0
	s_delay_alu instid0(VALU_DEP_1) | instskip(SKIP_2) | instid1(VALU_DEP_3)
	v_add_f32_e32 v8, v8, v9
	v_cndmask_b32_e64 v9, 0, 0x41b17218, vcc_lo
	v_cmp_gt_f32_e64 vcc_lo, 0x7f800000, |v0|
	v_cndmask_b32_e32 v0, v0, v8, vcc_lo
	s_delay_alu instid0(VALU_DEP_1) | instskip(NEXT) | instid1(VALU_DEP_1)
	v_sub_f32_e32 v0, v0, v9
	v_div_scale_f32 v8, null, v39, v39, v0
	s_delay_alu instid0(VALU_DEP_1) | instskip(SKIP_2) | instid1(VALU_DEP_1)
	v_rcp_f32_e32 v9, v8
	s_waitcnt_depctr 0xfff
	v_fma_f32 v10, -v8, v9, 1.0
	v_fmac_f32_e32 v9, v10, v9
	v_div_scale_f32 v10, vcc_lo, v0, v39, v0
	s_delay_alu instid0(VALU_DEP_1) | instskip(NEXT) | instid1(VALU_DEP_1)
	v_mul_f32_e32 v16, v10, v9
	v_fma_f32 v41, -v8, v16, v10
	s_delay_alu instid0(VALU_DEP_1) | instskip(NEXT) | instid1(VALU_DEP_1)
	v_fmac_f32_e32 v16, v41, v9
	v_fma_f32 v8, -v8, v16, v10
	s_delay_alu instid0(VALU_DEP_1) | instskip(NEXT) | instid1(VALU_DEP_1)
	v_div_fmas_f32 v8, v8, v9, v16
	v_div_fixup_f32 v0, v8, v39, v0
	s_delay_alu instid0(VALU_DEP_1)
	v_ceil_f32_e32 v0, v0
	global_store_b32 v7, v0, s[12:13]
.LBB27_34:                              ;   in Loop: Header=BB27_9 Depth=1
	s_or_b32 exec_lo, exec_lo, s35
	v_add_co_u32 v7, vcc_lo, v13, s24
	v_add_co_ci_u32_e32 v8, vcc_lo, 0, v14, vcc_lo
	s_mov_b32 s35, exec_lo
	s_delay_alu instid0(VALU_DEP_1)
	v_cmpx_gt_i64_e64 s[16:17], v[7:8]
	s_cbranch_execz .LBB27_49
; %bb.35:                               ;   in Loop: Header=BB27_9 Depth=1
	s_and_not1_b32 vcc_lo, exec_lo, s11
	s_cbranch_vccnz .LBB27_41
; %bb.36:                               ;   in Loop: Header=BB27_9 Depth=1
	v_mov_b32_e32 v0, 0
	s_and_not1_b32 vcc_lo, exec_lo, s27
	s_cbranch_vccnz .LBB27_45
; %bb.37:                               ;   in Loop: Header=BB27_9 Depth=1
	s_and_not1_b32 vcc_lo, exec_lo, s30
	s_mov_b32 s20, 0
	s_cbranch_vccnz .LBB27_42
; %bb.38:                               ;   in Loop: Header=BB27_9 Depth=1
	v_mov_b32_e32 v0, 0
	v_mov_b32_e32 v8, v7
	s_mov_b32 s36, 0
	s_mov_b64 s[20:21], s[18:19]
	s_mov_b64 s[22:23], s[0:1]
.LBB27_39:                              ;   Parent Loop BB27_9 Depth=1
                                        ; =>  This Inner Loop Header: Depth=2
	s_clause 0x1
	s_load_b256 s[40:47], s[20:21], 0x4
	s_load_b128 s[48:51], s[20:21], 0x24
	s_load_b128 s[52:55], s[22:23], 0x0
	s_add_u32 s20, s20, 48
	s_addc_u32 s21, s21, 0
	s_add_i32 s36, s36, 4
	s_add_u32 s22, s22, 16
	s_addc_u32 s23, s23, 0
	s_cmp_eq_u32 s31, s36
	s_waitcnt lgkmcnt(0)
	v_mul_hi_u32 v9, s41, v8
	s_delay_alu instid0(VALU_DEP_1) | instskip(NEXT) | instid1(VALU_DEP_1)
	v_add_nc_u32_e32 v9, v8, v9
	v_lshrrev_b32_e32 v9, s42, v9
	s_delay_alu instid0(VALU_DEP_1) | instskip(SKIP_1) | instid1(VALU_DEP_2)
	v_mul_hi_u32 v10, s44, v9
	v_mul_lo_u32 v42, v9, s40
	v_add_nc_u32_e32 v10, v9, v10
	s_delay_alu instid0(VALU_DEP_2) | instskip(NEXT) | instid1(VALU_DEP_2)
	v_sub_nc_u32_e32 v42, v8, v42
	v_lshrrev_b32_e32 v10, s45, v10
	s_delay_alu instid0(VALU_DEP_2) | instskip(NEXT) | instid1(VALU_DEP_2)
	v_mul_lo_u32 v42, v42, s52
	v_mul_hi_u32 v16, s47, v10
	v_mul_lo_u32 v43, v10, s43
	s_delay_alu instid0(VALU_DEP_2) | instskip(NEXT) | instid1(VALU_DEP_2)
	v_add_nc_u32_e32 v16, v10, v16
	v_sub_nc_u32_e32 v9, v9, v43
	s_delay_alu instid0(VALU_DEP_2) | instskip(NEXT) | instid1(VALU_DEP_2)
	v_lshrrev_b32_e32 v16, s48, v16
	v_mul_lo_u32 v9, v9, s53
	s_delay_alu instid0(VALU_DEP_2) | instskip(NEXT) | instid1(VALU_DEP_2)
	v_mul_hi_u32 v41, s50, v16
	v_add3_u32 v0, v42, v0, v9
	s_delay_alu instid0(VALU_DEP_2) | instskip(NEXT) | instid1(VALU_DEP_1)
	v_add_nc_u32_e32 v41, v16, v41
	v_lshrrev_b32_e32 v8, s51, v41
	v_mul_lo_u32 v41, v16, s46
	s_delay_alu instid0(VALU_DEP_2) | instskip(NEXT) | instid1(VALU_DEP_2)
	v_mul_lo_u32 v44, v8, s49
	v_sub_nc_u32_e32 v10, v10, v41
	s_delay_alu instid0(VALU_DEP_2) | instskip(NEXT) | instid1(VALU_DEP_2)
	v_sub_nc_u32_e32 v16, v16, v44
	v_mul_lo_u32 v10, v10, s54
	s_delay_alu instid0(VALU_DEP_2) | instskip(NEXT) | instid1(VALU_DEP_1)
	v_mul_lo_u32 v16, v16, s55
	v_add3_u32 v0, v10, v0, v16
	s_cbranch_scc0 .LBB27_39
; %bb.40:                               ;   in Loop: Header=BB27_9 Depth=1
	s_mov_b32 s20, s31
	s_and_not1_b32 vcc_lo, exec_lo, s34
	s_cbranch_vccz .LBB27_43
	s_branch .LBB27_45
.LBB27_41:                              ;   in Loop: Header=BB27_9 Depth=1
                                        ; implicit-def: $vgpr0
	s_branch .LBB27_46
.LBB27_42:                              ;   in Loop: Header=BB27_9 Depth=1
	v_mov_b32_e32 v8, v7
	s_and_not1_b32 vcc_lo, exec_lo, s34
	s_cbranch_vccnz .LBB27_45
.LBB27_43:                              ;   in Loop: Header=BB27_9 Depth=1
	s_lshl_b32 s21, s20, 2
	s_mul_i32 s22, s20, 12
	s_add_u32 s20, s0, s21
	s_addc_u32 s21, s1, 0
	s_add_u32 s22, s18, s22
	s_addc_u32 s23, s19, 0
	s_mov_b32 s36, s29
	.p2align	6
.LBB27_44:                              ;   Parent Loop BB27_9 Depth=1
                                        ; =>  This Inner Loop Header: Depth=2
	s_clause 0x1
	s_load_b64 s[38:39], s[22:23], 0x4
	s_load_b32 s37, s[22:23], 0xc
	s_add_u32 s22, s22, 12
	s_addc_u32 s23, s23, 0
	s_waitcnt lgkmcnt(0)
	v_mul_hi_u32 v9, s39, v8
	s_load_b32 s39, s[20:21], 0x0
	s_add_u32 s20, s20, 4
	s_addc_u32 s21, s21, 0
	s_add_i32 s36, s36, -1
	s_delay_alu instid0(SALU_CYCLE_1) | instskip(NEXT) | instid1(VALU_DEP_1)
	s_cmp_lg_u32 s36, 0
	v_add_nc_u32_e32 v9, v8, v9
	s_delay_alu instid0(VALU_DEP_1) | instskip(NEXT) | instid1(VALU_DEP_1)
	v_lshrrev_b32_e32 v16, s37, v9
	v_mul_lo_u32 v9, v16, s38
	s_delay_alu instid0(VALU_DEP_1) | instskip(SKIP_1) | instid1(VALU_DEP_1)
	v_sub_nc_u32_e32 v8, v8, v9
	s_waitcnt lgkmcnt(0)
	v_mad_u64_u32 v[9:10], null, v8, s39, v[0:1]
	v_mov_b32_e32 v8, v16
	s_delay_alu instid0(VALU_DEP_2)
	v_mov_b32_e32 v0, v9
	s_cbranch_scc1 .LBB27_44
.LBB27_45:                              ;   in Loop: Header=BB27_9 Depth=1
	s_cbranch_execnz .LBB27_48
.LBB27_46:                              ;   in Loop: Header=BB27_9 Depth=1
	v_mul_hi_u32 v0, v7, s6
	s_and_not1_b32 vcc_lo, exec_lo, s4
	s_delay_alu instid0(VALU_DEP_1) | instskip(NEXT) | instid1(VALU_DEP_1)
	v_add_nc_u32_e32 v0, v0, v7
	v_lshrrev_b32_e32 v8, s7, v0
	s_delay_alu instid0(VALU_DEP_1) | instskip(NEXT) | instid1(VALU_DEP_1)
	v_mul_lo_u32 v0, v8, s5
	v_sub_nc_u32_e32 v0, v7, v0
	s_waitcnt lgkmcnt(0)
	s_delay_alu instid0(VALU_DEP_1)
	v_mul_lo_u32 v0, v0, s14
	s_cbranch_vccnz .LBB27_48
; %bb.47:                               ;   in Loop: Header=BB27_9 Depth=1
	v_mul_hi_u32 v7, s9, v8
	s_delay_alu instid0(VALU_DEP_1) | instskip(NEXT) | instid1(VALU_DEP_1)
	v_add_nc_u32_e32 v7, v8, v7
	v_lshrrev_b32_e32 v7, s10, v7
	s_delay_alu instid0(VALU_DEP_1) | instskip(NEXT) | instid1(VALU_DEP_1)
	v_mul_lo_u32 v7, v7, s8
	v_sub_nc_u32_e32 v9, v8, v7
	s_delay_alu instid0(VALU_DEP_1) | instskip(NEXT) | instid1(VALU_DEP_1)
	v_mad_u64_u32 v[7:8], null, v9, s15, v[0:1]
	v_mov_b32_e32 v0, v7
.LBB27_48:                              ;   in Loop: Header=BB27_9 Depth=1
	v_cvt_f32_u32_e32 v1, v1
	s_delay_alu instid0(VALU_DEP_1) | instskip(NEXT) | instid1(VALU_DEP_1)
	v_fmaak_f32 v1, 0x2f800000, v1, 0x2f800000
	v_cmp_gt_f32_e32 vcc_lo, 0x800000, v1
	v_cndmask_b32_e64 v7, 1.0, 0x4f800000, vcc_lo
	s_delay_alu instid0(VALU_DEP_1) | instskip(NEXT) | instid1(VALU_DEP_1)
	v_mul_f32_e32 v1, v1, v7
	v_log_f32_e32 v1, v1
	s_waitcnt_depctr 0xfff
	v_mul_f32_e32 v7, 0x3f317217, v1
	s_delay_alu instid0(VALU_DEP_1) | instskip(NEXT) | instid1(VALU_DEP_1)
	v_fma_f32 v8, 0x3f317217, v1, -v7
	v_fmac_f32_e32 v8, 0x3377d1cf, v1
	s_delay_alu instid0(VALU_DEP_1) | instskip(SKIP_2) | instid1(VALU_DEP_3)
	v_add_f32_e32 v7, v7, v8
	v_cndmask_b32_e64 v8, 0, 0x41b17218, vcc_lo
	v_cmp_gt_f32_e64 vcc_lo, 0x7f800000, |v1|
	v_cndmask_b32_e32 v1, v1, v7, vcc_lo
	s_delay_alu instid0(VALU_DEP_1) | instskip(NEXT) | instid1(VALU_DEP_1)
	v_sub_f32_e32 v1, v1, v8
	v_div_scale_f32 v7, null, v39, v39, v1
	s_delay_alu instid0(VALU_DEP_1) | instskip(SKIP_2) | instid1(VALU_DEP_1)
	v_rcp_f32_e32 v8, v7
	s_waitcnt_depctr 0xfff
	v_fma_f32 v9, -v7, v8, 1.0
	v_fmac_f32_e32 v8, v9, v8
	v_div_scale_f32 v9, vcc_lo, v1, v39, v1
	s_delay_alu instid0(VALU_DEP_1) | instskip(NEXT) | instid1(VALU_DEP_1)
	v_mul_f32_e32 v10, v9, v8
	v_fma_f32 v16, -v7, v10, v9
	s_delay_alu instid0(VALU_DEP_1) | instskip(NEXT) | instid1(VALU_DEP_1)
	v_fmac_f32_e32 v10, v16, v8
	v_fma_f32 v7, -v7, v10, v9
	s_delay_alu instid0(VALU_DEP_1) | instskip(NEXT) | instid1(VALU_DEP_1)
	v_div_fmas_f32 v7, v7, v8, v10
	v_div_fixup_f32 v1, v7, v39, v1
	s_delay_alu instid0(VALU_DEP_1)
	v_ceil_f32_e32 v1, v1
	global_store_b32 v0, v1, s[12:13]
.LBB27_49:                              ;   in Loop: Header=BB27_9 Depth=1
	s_or_b32 exec_lo, exec_lo, s35
	v_add_co_u32 v0, vcc_lo, v13, s28
	v_add_co_ci_u32_e32 v1, vcc_lo, 0, v14, vcc_lo
	s_mov_b32 s35, exec_lo
	s_delay_alu instid0(VALU_DEP_1)
	v_cmpx_gt_i64_e64 s[16:17], v[0:1]
	s_cbranch_execz .LBB27_64
; %bb.50:                               ;   in Loop: Header=BB27_9 Depth=1
	s_and_not1_b32 vcc_lo, exec_lo, s11
	s_cbranch_vccnz .LBB27_56
; %bb.51:                               ;   in Loop: Header=BB27_9 Depth=1
	v_mov_b32_e32 v1, 0
	s_and_not1_b32 vcc_lo, exec_lo, s27
	s_cbranch_vccnz .LBB27_60
; %bb.52:                               ;   in Loop: Header=BB27_9 Depth=1
	s_and_not1_b32 vcc_lo, exec_lo, s30
	s_mov_b32 s20, 0
	s_cbranch_vccnz .LBB27_57
; %bb.53:                               ;   in Loop: Header=BB27_9 Depth=1
	v_mov_b32_e32 v1, 0
	v_mov_b32_e32 v7, v0
	s_mov_b32 s36, 0
	s_mov_b64 s[20:21], s[18:19]
	s_mov_b64 s[22:23], s[0:1]
.LBB27_54:                              ;   Parent Loop BB27_9 Depth=1
                                        ; =>  This Inner Loop Header: Depth=2
	s_clause 0x1
	s_load_b256 s[40:47], s[20:21], 0x4
	s_load_b128 s[48:51], s[20:21], 0x24
	s_load_b128 s[52:55], s[22:23], 0x0
	s_add_u32 s20, s20, 48
	s_addc_u32 s21, s21, 0
	s_add_i32 s36, s36, 4
	s_add_u32 s22, s22, 16
	s_addc_u32 s23, s23, 0
	s_cmp_eq_u32 s31, s36
	s_waitcnt lgkmcnt(0)
	v_mul_hi_u32 v8, s41, v7
	s_delay_alu instid0(VALU_DEP_1) | instskip(NEXT) | instid1(VALU_DEP_1)
	v_add_nc_u32_e32 v8, v7, v8
	v_lshrrev_b32_e32 v8, s42, v8
	s_delay_alu instid0(VALU_DEP_1) | instskip(SKIP_1) | instid1(VALU_DEP_2)
	v_mul_hi_u32 v9, s44, v8
	v_mul_lo_u32 v41, v8, s40
	v_add_nc_u32_e32 v9, v8, v9
	s_delay_alu instid0(VALU_DEP_2) | instskip(NEXT) | instid1(VALU_DEP_2)
	v_sub_nc_u32_e32 v41, v7, v41
	v_lshrrev_b32_e32 v9, s45, v9
	s_delay_alu instid0(VALU_DEP_2) | instskip(NEXT) | instid1(VALU_DEP_2)
	v_mul_lo_u32 v41, v41, s52
	v_mul_hi_u32 v10, s47, v9
	v_mul_lo_u32 v42, v9, s43
	s_delay_alu instid0(VALU_DEP_2) | instskip(NEXT) | instid1(VALU_DEP_2)
	v_add_nc_u32_e32 v10, v9, v10
	v_sub_nc_u32_e32 v8, v8, v42
	s_delay_alu instid0(VALU_DEP_2) | instskip(NEXT) | instid1(VALU_DEP_2)
	v_lshrrev_b32_e32 v10, s48, v10
	v_mul_lo_u32 v8, v8, s53
	s_delay_alu instid0(VALU_DEP_2) | instskip(NEXT) | instid1(VALU_DEP_2)
	v_mul_hi_u32 v16, s50, v10
	v_add3_u32 v1, v41, v1, v8
	s_delay_alu instid0(VALU_DEP_2) | instskip(NEXT) | instid1(VALU_DEP_1)
	v_add_nc_u32_e32 v16, v10, v16
	v_lshrrev_b32_e32 v7, s51, v16
	v_mul_lo_u32 v16, v10, s46
	s_delay_alu instid0(VALU_DEP_2) | instskip(NEXT) | instid1(VALU_DEP_2)
	v_mul_lo_u32 v43, v7, s49
	v_sub_nc_u32_e32 v9, v9, v16
	s_delay_alu instid0(VALU_DEP_2) | instskip(NEXT) | instid1(VALU_DEP_2)
	v_sub_nc_u32_e32 v10, v10, v43
	v_mul_lo_u32 v9, v9, s54
	s_delay_alu instid0(VALU_DEP_2) | instskip(NEXT) | instid1(VALU_DEP_1)
	v_mul_lo_u32 v10, v10, s55
	v_add3_u32 v1, v9, v1, v10
	s_cbranch_scc0 .LBB27_54
; %bb.55:                               ;   in Loop: Header=BB27_9 Depth=1
	s_mov_b32 s20, s31
	s_and_not1_b32 vcc_lo, exec_lo, s34
	s_cbranch_vccz .LBB27_58
	s_branch .LBB27_60
.LBB27_56:                              ;   in Loop: Header=BB27_9 Depth=1
                                        ; implicit-def: $vgpr1
	s_branch .LBB27_61
.LBB27_57:                              ;   in Loop: Header=BB27_9 Depth=1
	v_mov_b32_e32 v7, v0
	s_and_not1_b32 vcc_lo, exec_lo, s34
	s_cbranch_vccnz .LBB27_60
.LBB27_58:                              ;   in Loop: Header=BB27_9 Depth=1
	s_lshl_b32 s21, s20, 2
	s_mul_i32 s22, s20, 12
	s_add_u32 s20, s0, s21
	s_addc_u32 s21, s1, 0
	s_add_u32 s22, s18, s22
	s_addc_u32 s23, s19, 0
	s_mov_b32 s36, s29
	.p2align	6
.LBB27_59:                              ;   Parent Loop BB27_9 Depth=1
                                        ; =>  This Inner Loop Header: Depth=2
	s_clause 0x1
	s_load_b64 s[38:39], s[22:23], 0x4
	s_load_b32 s37, s[22:23], 0xc
	s_add_u32 s22, s22, 12
	s_addc_u32 s23, s23, 0
	s_waitcnt lgkmcnt(0)
	v_mul_hi_u32 v8, s39, v7
	s_load_b32 s39, s[20:21], 0x0
	s_add_u32 s20, s20, 4
	s_addc_u32 s21, s21, 0
	s_add_i32 s36, s36, -1
	s_delay_alu instid0(SALU_CYCLE_1) | instskip(NEXT) | instid1(VALU_DEP_1)
	s_cmp_lg_u32 s36, 0
	v_add_nc_u32_e32 v8, v7, v8
	s_delay_alu instid0(VALU_DEP_1) | instskip(NEXT) | instid1(VALU_DEP_1)
	v_lshrrev_b32_e32 v10, s37, v8
	v_mul_lo_u32 v8, v10, s38
	s_delay_alu instid0(VALU_DEP_1) | instskip(SKIP_1) | instid1(VALU_DEP_1)
	v_sub_nc_u32_e32 v7, v7, v8
	s_waitcnt lgkmcnt(0)
	v_mad_u64_u32 v[8:9], null, v7, s39, v[1:2]
	v_mov_b32_e32 v7, v10
	s_delay_alu instid0(VALU_DEP_2)
	v_mov_b32_e32 v1, v8
	s_cbranch_scc1 .LBB27_59
.LBB27_60:                              ;   in Loop: Header=BB27_9 Depth=1
	s_cbranch_execnz .LBB27_63
.LBB27_61:                              ;   in Loop: Header=BB27_9 Depth=1
	v_mul_hi_u32 v1, v0, s6
	s_and_not1_b32 vcc_lo, exec_lo, s4
	s_delay_alu instid0(VALU_DEP_1) | instskip(NEXT) | instid1(VALU_DEP_1)
	v_add_nc_u32_e32 v1, v1, v0
	v_lshrrev_b32_e32 v7, s7, v1
	s_delay_alu instid0(VALU_DEP_1) | instskip(NEXT) | instid1(VALU_DEP_1)
	v_mul_lo_u32 v1, v7, s5
	v_sub_nc_u32_e32 v0, v0, v1
	s_waitcnt lgkmcnt(0)
	s_delay_alu instid0(VALU_DEP_1)
	v_mul_lo_u32 v1, v0, s14
	s_cbranch_vccnz .LBB27_63
; %bb.62:                               ;   in Loop: Header=BB27_9 Depth=1
	v_mul_hi_u32 v0, s9, v7
	s_delay_alu instid0(VALU_DEP_1) | instskip(NEXT) | instid1(VALU_DEP_1)
	v_add_nc_u32_e32 v0, v7, v0
	v_lshrrev_b32_e32 v0, s10, v0
	s_delay_alu instid0(VALU_DEP_1) | instskip(NEXT) | instid1(VALU_DEP_1)
	v_mul_lo_u32 v0, v0, s8
	v_sub_nc_u32_e32 v0, v7, v0
	s_delay_alu instid0(VALU_DEP_1) | instskip(NEXT) | instid1(VALU_DEP_1)
	v_mad_u64_u32 v[7:8], null, v0, s15, v[1:2]
	v_mov_b32_e32 v1, v7
.LBB27_63:                              ;   in Loop: Header=BB27_9 Depth=1
	v_cvt_f32_u32_e32 v0, v2
	s_delay_alu instid0(VALU_DEP_1) | instskip(NEXT) | instid1(VALU_DEP_1)
	v_fmaak_f32 v0, 0x2f800000, v0, 0x2f800000
	v_cmp_gt_f32_e32 vcc_lo, 0x800000, v0
	v_cndmask_b32_e64 v2, 1.0, 0x4f800000, vcc_lo
	s_delay_alu instid0(VALU_DEP_1) | instskip(NEXT) | instid1(VALU_DEP_1)
	v_mul_f32_e32 v0, v0, v2
	v_log_f32_e32 v0, v0
	s_waitcnt_depctr 0xfff
	v_mul_f32_e32 v2, 0x3f317217, v0
	s_delay_alu instid0(VALU_DEP_1) | instskip(NEXT) | instid1(VALU_DEP_1)
	v_fma_f32 v7, 0x3f317217, v0, -v2
	v_fmac_f32_e32 v7, 0x3377d1cf, v0
	s_delay_alu instid0(VALU_DEP_1) | instskip(SKIP_2) | instid1(VALU_DEP_3)
	v_add_f32_e32 v2, v2, v7
	v_cndmask_b32_e64 v7, 0, 0x41b17218, vcc_lo
	v_cmp_gt_f32_e64 vcc_lo, 0x7f800000, |v0|
	v_cndmask_b32_e32 v0, v0, v2, vcc_lo
	s_delay_alu instid0(VALU_DEP_1) | instskip(NEXT) | instid1(VALU_DEP_1)
	v_sub_f32_e32 v0, v0, v7
	v_div_scale_f32 v2, null, v39, v39, v0
	s_delay_alu instid0(VALU_DEP_1) | instskip(SKIP_2) | instid1(VALU_DEP_1)
	v_rcp_f32_e32 v7, v2
	s_waitcnt_depctr 0xfff
	v_fma_f32 v8, -v2, v7, 1.0
	v_fmac_f32_e32 v7, v8, v7
	v_div_scale_f32 v8, vcc_lo, v0, v39, v0
	s_delay_alu instid0(VALU_DEP_1) | instskip(NEXT) | instid1(VALU_DEP_1)
	v_mul_f32_e32 v9, v8, v7
	v_fma_f32 v10, -v2, v9, v8
	s_delay_alu instid0(VALU_DEP_1) | instskip(NEXT) | instid1(VALU_DEP_1)
	v_fmac_f32_e32 v9, v10, v7
	v_fma_f32 v2, -v2, v9, v8
	s_delay_alu instid0(VALU_DEP_1) | instskip(NEXT) | instid1(VALU_DEP_1)
	v_div_fmas_f32 v2, v2, v7, v9
	v_div_fixup_f32 v0, v2, v39, v0
	s_delay_alu instid0(VALU_DEP_1)
	v_ceil_f32_e32 v0, v0
	global_store_b32 v1, v0, s[12:13]
.LBB27_64:                              ;   in Loop: Header=BB27_9 Depth=1
	s_or_b32 exec_lo, exec_lo, s35
	v_add_co_u32 v0, vcc_lo, v13, s33
	v_add_co_ci_u32_e32 v1, vcc_lo, 0, v14, vcc_lo
	s_mov_b32 s35, exec_lo
	s_delay_alu instid0(VALU_DEP_1)
	v_cmpx_gt_i64_e64 s[16:17], v[0:1]
	s_cbranch_execz .LBB27_8
; %bb.65:                               ;   in Loop: Header=BB27_9 Depth=1
	s_and_not1_b32 vcc_lo, exec_lo, s11
	s_cbranch_vccnz .LBB27_71
; %bb.66:                               ;   in Loop: Header=BB27_9 Depth=1
	v_mov_b32_e32 v1, 0
	s_and_not1_b32 vcc_lo, exec_lo, s27
	s_cbranch_vccnz .LBB27_75
; %bb.67:                               ;   in Loop: Header=BB27_9 Depth=1
	s_and_not1_b32 vcc_lo, exec_lo, s30
	s_mov_b32 s20, 0
	s_cbranch_vccnz .LBB27_72
; %bb.68:                               ;   in Loop: Header=BB27_9 Depth=1
	v_dual_mov_b32 v1, 0 :: v_dual_mov_b32 v2, v0
	s_mov_b32 s36, 0
	s_mov_b64 s[20:21], s[18:19]
	s_mov_b64 s[22:23], s[0:1]
.LBB27_69:                              ;   Parent Loop BB27_9 Depth=1
                                        ; =>  This Inner Loop Header: Depth=2
	s_clause 0x1
	s_load_b256 s[40:47], s[20:21], 0x4
	s_load_b128 s[48:51], s[20:21], 0x24
	s_load_b128 s[52:55], s[22:23], 0x0
	s_add_u32 s20, s20, 48
	s_addc_u32 s21, s21, 0
	s_add_i32 s36, s36, 4
	s_add_u32 s22, s22, 16
	s_addc_u32 s23, s23, 0
	s_cmp_eq_u32 s31, s36
	s_waitcnt lgkmcnt(0)
	v_mul_hi_u32 v7, s41, v2
	s_delay_alu instid0(VALU_DEP_1) | instskip(NEXT) | instid1(VALU_DEP_1)
	v_add_nc_u32_e32 v7, v2, v7
	v_lshrrev_b32_e32 v7, s42, v7
	s_delay_alu instid0(VALU_DEP_1) | instskip(SKIP_1) | instid1(VALU_DEP_2)
	v_mul_hi_u32 v8, s44, v7
	v_mul_lo_u32 v16, v7, s40
	v_add_nc_u32_e32 v8, v7, v8
	s_delay_alu instid0(VALU_DEP_2) | instskip(NEXT) | instid1(VALU_DEP_2)
	v_sub_nc_u32_e32 v16, v2, v16
	v_lshrrev_b32_e32 v8, s45, v8
	s_delay_alu instid0(VALU_DEP_2) | instskip(NEXT) | instid1(VALU_DEP_2)
	v_mul_lo_u32 v16, v16, s52
	v_mul_hi_u32 v9, s47, v8
	v_mul_lo_u32 v41, v8, s43
	s_delay_alu instid0(VALU_DEP_2) | instskip(NEXT) | instid1(VALU_DEP_2)
	v_add_nc_u32_e32 v9, v8, v9
	v_sub_nc_u32_e32 v7, v7, v41
	s_delay_alu instid0(VALU_DEP_2) | instskip(NEXT) | instid1(VALU_DEP_2)
	v_lshrrev_b32_e32 v9, s48, v9
	v_mul_lo_u32 v7, v7, s53
	s_delay_alu instid0(VALU_DEP_2) | instskip(NEXT) | instid1(VALU_DEP_2)
	v_mul_hi_u32 v10, s50, v9
	v_add3_u32 v1, v16, v1, v7
	s_delay_alu instid0(VALU_DEP_2) | instskip(NEXT) | instid1(VALU_DEP_1)
	v_add_nc_u32_e32 v10, v9, v10
	v_lshrrev_b32_e32 v2, s51, v10
	v_mul_lo_u32 v10, v9, s46
	s_delay_alu instid0(VALU_DEP_2) | instskip(NEXT) | instid1(VALU_DEP_2)
	v_mul_lo_u32 v42, v2, s49
	v_sub_nc_u32_e32 v8, v8, v10
	s_delay_alu instid0(VALU_DEP_2) | instskip(NEXT) | instid1(VALU_DEP_2)
	v_sub_nc_u32_e32 v9, v9, v42
	v_mul_lo_u32 v8, v8, s54
	s_delay_alu instid0(VALU_DEP_2) | instskip(NEXT) | instid1(VALU_DEP_1)
	v_mul_lo_u32 v9, v9, s55
	v_add3_u32 v1, v8, v1, v9
	s_cbranch_scc0 .LBB27_69
; %bb.70:                               ;   in Loop: Header=BB27_9 Depth=1
	s_mov_b32 s20, s31
	s_and_not1_b32 vcc_lo, exec_lo, s34
	s_cbranch_vccz .LBB27_73
	s_branch .LBB27_75
.LBB27_71:                              ;   in Loop: Header=BB27_9 Depth=1
                                        ; implicit-def: $vgpr1
	s_branch .LBB27_76
.LBB27_72:                              ;   in Loop: Header=BB27_9 Depth=1
	v_mov_b32_e32 v2, v0
	s_and_not1_b32 vcc_lo, exec_lo, s34
	s_cbranch_vccnz .LBB27_75
.LBB27_73:                              ;   in Loop: Header=BB27_9 Depth=1
	s_lshl_b32 s21, s20, 2
	s_mul_i32 s22, s20, 12
	s_add_u32 s20, s0, s21
	s_addc_u32 s21, s1, 0
	s_add_u32 s22, s18, s22
	s_addc_u32 s23, s19, 0
	s_mov_b32 s36, s29
	.p2align	6
.LBB27_74:                              ;   Parent Loop BB27_9 Depth=1
                                        ; =>  This Inner Loop Header: Depth=2
	s_clause 0x1
	s_load_b64 s[38:39], s[22:23], 0x4
	s_load_b32 s37, s[22:23], 0xc
	s_add_u32 s22, s22, 12
	s_addc_u32 s23, s23, 0
	s_waitcnt lgkmcnt(0)
	v_mul_hi_u32 v7, s39, v2
	s_load_b32 s39, s[20:21], 0x0
	s_add_u32 s20, s20, 4
	s_addc_u32 s21, s21, 0
	s_add_i32 s36, s36, -1
	s_delay_alu instid0(SALU_CYCLE_1) | instskip(NEXT) | instid1(VALU_DEP_1)
	s_cmp_lg_u32 s36, 0
	v_add_nc_u32_e32 v7, v2, v7
	s_delay_alu instid0(VALU_DEP_1) | instskip(NEXT) | instid1(VALU_DEP_1)
	v_lshrrev_b32_e32 v9, s37, v7
	v_mul_lo_u32 v7, v9, s38
	s_delay_alu instid0(VALU_DEP_1) | instskip(SKIP_1) | instid1(VALU_DEP_1)
	v_sub_nc_u32_e32 v2, v2, v7
	s_waitcnt lgkmcnt(0)
	v_mad_u64_u32 v[7:8], null, v2, s39, v[1:2]
	s_delay_alu instid0(VALU_DEP_1)
	v_dual_mov_b32 v2, v9 :: v_dual_mov_b32 v1, v7
	s_cbranch_scc1 .LBB27_74
.LBB27_75:                              ;   in Loop: Header=BB27_9 Depth=1
	s_cbranch_execnz .LBB27_7
.LBB27_76:                              ;   in Loop: Header=BB27_9 Depth=1
	v_mul_hi_u32 v1, v0, s6
	s_and_not1_b32 vcc_lo, exec_lo, s4
	s_delay_alu instid0(VALU_DEP_1) | instskip(NEXT) | instid1(VALU_DEP_1)
	v_add_nc_u32_e32 v1, v1, v0
	v_lshrrev_b32_e32 v2, s7, v1
	s_delay_alu instid0(VALU_DEP_1) | instskip(NEXT) | instid1(VALU_DEP_1)
	v_mul_lo_u32 v1, v2, s5
	v_sub_nc_u32_e32 v0, v0, v1
	s_waitcnt lgkmcnt(0)
	s_delay_alu instid0(VALU_DEP_1)
	v_mul_lo_u32 v1, v0, s14
	s_cbranch_vccnz .LBB27_7
; %bb.77:                               ;   in Loop: Header=BB27_9 Depth=1
	v_mul_hi_u32 v0, s9, v2
	s_delay_alu instid0(VALU_DEP_1) | instskip(NEXT) | instid1(VALU_DEP_1)
	v_add_nc_u32_e32 v0, v2, v0
	v_lshrrev_b32_e32 v0, s10, v0
	s_delay_alu instid0(VALU_DEP_1) | instskip(NEXT) | instid1(VALU_DEP_1)
	v_mul_lo_u32 v0, v0, s8
	v_sub_nc_u32_e32 v0, v2, v0
	s_delay_alu instid0(VALU_DEP_1) | instskip(NEXT) | instid1(VALU_DEP_1)
	v_mad_u64_u32 v[7:8], null, v0, s15, v[1:2]
	v_mov_b32_e32 v1, v7
	s_branch .LBB27_7
.LBB27_78:
	s_endpgm
.LBB27_79:
                                        ; implicit-def: $sgpr2_sgpr3
	s_branch .LBB27_4
	.section	.rodata,"a",@progbits
	.p2align	6, 0x0
	.amdhsa_kernel _ZN2at6native12_GLOBAL__N_143distribution_elementwise_grid_stride_kernelIfLi4EZNS0_9templates4cuda21uniform_and_transformIffPNS_17CUDAGeneratorImplEZZZNS4_16geometric_kernelIS7_EEvRNS_18TensorIteratorBaseEdT_ENKUlvE_clEvENKUlvE5_clEvEUlfE_EEvSA_T1_T2_EUlP25hiprandStatePhilox4_32_10E0_ZNS1_27distribution_nullary_kernelIff15HIP_vector_typeIfLj4EES7_SJ_SE_EEvSA_SG_RKT3_T4_EUlifE0_EEvlNS_15PhiloxCudaStateESF_SG_
		.amdhsa_group_segment_fixed_size 0
		.amdhsa_private_segment_fixed_size 0
		.amdhsa_kernarg_size 584
		.amdhsa_user_sgpr_count 15
		.amdhsa_user_sgpr_dispatch_ptr 0
		.amdhsa_user_sgpr_queue_ptr 0
		.amdhsa_user_sgpr_kernarg_segment_ptr 1
		.amdhsa_user_sgpr_dispatch_id 0
		.amdhsa_user_sgpr_private_segment_size 0
		.amdhsa_wavefront_size32 1
		.amdhsa_uses_dynamic_stack 0
		.amdhsa_enable_private_segment 0
		.amdhsa_system_sgpr_workgroup_id_x 1
		.amdhsa_system_sgpr_workgroup_id_y 0
		.amdhsa_system_sgpr_workgroup_id_z 0
		.amdhsa_system_sgpr_workgroup_info 0
		.amdhsa_system_vgpr_workitem_id 0
		.amdhsa_next_free_vgpr 45
		.amdhsa_next_free_sgpr 56
		.amdhsa_reserve_vcc 1
		.amdhsa_float_round_mode_32 0
		.amdhsa_float_round_mode_16_64 0
		.amdhsa_float_denorm_mode_32 3
		.amdhsa_float_denorm_mode_16_64 3
		.amdhsa_dx10_clamp 1
		.amdhsa_ieee_mode 1
		.amdhsa_fp16_overflow 0
		.amdhsa_workgroup_processor_mode 1
		.amdhsa_memory_ordered 1
		.amdhsa_forward_progress 0
		.amdhsa_shared_vgpr_count 0
		.amdhsa_exception_fp_ieee_invalid_op 0
		.amdhsa_exception_fp_denorm_src 0
		.amdhsa_exception_fp_ieee_div_zero 0
		.amdhsa_exception_fp_ieee_overflow 0
		.amdhsa_exception_fp_ieee_underflow 0
		.amdhsa_exception_fp_ieee_inexact 0
		.amdhsa_exception_int_div_zero 0
	.end_amdhsa_kernel
	.section	.text._ZN2at6native12_GLOBAL__N_143distribution_elementwise_grid_stride_kernelIfLi4EZNS0_9templates4cuda21uniform_and_transformIffPNS_17CUDAGeneratorImplEZZZNS4_16geometric_kernelIS7_EEvRNS_18TensorIteratorBaseEdT_ENKUlvE_clEvENKUlvE5_clEvEUlfE_EEvSA_T1_T2_EUlP25hiprandStatePhilox4_32_10E0_ZNS1_27distribution_nullary_kernelIff15HIP_vector_typeIfLj4EES7_SJ_SE_EEvSA_SG_RKT3_T4_EUlifE0_EEvlNS_15PhiloxCudaStateESF_SG_,"axG",@progbits,_ZN2at6native12_GLOBAL__N_143distribution_elementwise_grid_stride_kernelIfLi4EZNS0_9templates4cuda21uniform_and_transformIffPNS_17CUDAGeneratorImplEZZZNS4_16geometric_kernelIS7_EEvRNS_18TensorIteratorBaseEdT_ENKUlvE_clEvENKUlvE5_clEvEUlfE_EEvSA_T1_T2_EUlP25hiprandStatePhilox4_32_10E0_ZNS1_27distribution_nullary_kernelIff15HIP_vector_typeIfLj4EES7_SJ_SE_EEvSA_SG_RKT3_T4_EUlifE0_EEvlNS_15PhiloxCudaStateESF_SG_,comdat
.Lfunc_end27:
	.size	_ZN2at6native12_GLOBAL__N_143distribution_elementwise_grid_stride_kernelIfLi4EZNS0_9templates4cuda21uniform_and_transformIffPNS_17CUDAGeneratorImplEZZZNS4_16geometric_kernelIS7_EEvRNS_18TensorIteratorBaseEdT_ENKUlvE_clEvENKUlvE5_clEvEUlfE_EEvSA_T1_T2_EUlP25hiprandStatePhilox4_32_10E0_ZNS1_27distribution_nullary_kernelIff15HIP_vector_typeIfLj4EES7_SJ_SE_EEvSA_SG_RKT3_T4_EUlifE0_EEvlNS_15PhiloxCudaStateESF_SG_, .Lfunc_end27-_ZN2at6native12_GLOBAL__N_143distribution_elementwise_grid_stride_kernelIfLi4EZNS0_9templates4cuda21uniform_and_transformIffPNS_17CUDAGeneratorImplEZZZNS4_16geometric_kernelIS7_EEvRNS_18TensorIteratorBaseEdT_ENKUlvE_clEvENKUlvE5_clEvEUlfE_EEvSA_T1_T2_EUlP25hiprandStatePhilox4_32_10E0_ZNS1_27distribution_nullary_kernelIff15HIP_vector_typeIfLj4EES7_SJ_SE_EEvSA_SG_RKT3_T4_EUlifE0_EEvlNS_15PhiloxCudaStateESF_SG_
                                        ; -- End function
	.section	.AMDGPU.csdata,"",@progbits
; Kernel info:
; codeLenInByte = 6740
; NumSgprs: 58
; NumVgprs: 45
; ScratchSize: 0
; MemoryBound: 0
; FloatMode: 240
; IeeeMode: 1
; LDSByteSize: 0 bytes/workgroup (compile time only)
; SGPRBlocks: 7
; VGPRBlocks: 5
; NumSGPRsForWavesPerEU: 58
; NumVGPRsForWavesPerEU: 45
; Occupancy: 16
; WaveLimiterHint : 1
; COMPUTE_PGM_RSRC2:SCRATCH_EN: 0
; COMPUTE_PGM_RSRC2:USER_SGPR: 15
; COMPUTE_PGM_RSRC2:TRAP_HANDLER: 0
; COMPUTE_PGM_RSRC2:TGID_X_EN: 1
; COMPUTE_PGM_RSRC2:TGID_Y_EN: 0
; COMPUTE_PGM_RSRC2:TGID_Z_EN: 0
; COMPUTE_PGM_RSRC2:TIDIG_COMP_CNT: 0
	.section	.text._ZN2at6native12_GLOBAL__N_143distribution_elementwise_grid_stride_kernelIfLi4EZNS0_9templates4cuda21uniform_and_transformIN3c104HalfEfPNS_17CUDAGeneratorImplEZZZNS4_16geometric_kernelIS9_EEvRNS_18TensorIteratorBaseEdT_ENKUlvE_clEvENKUlvE6_clEvEUlfE_EEvSC_T1_T2_EUlP25hiprandStatePhilox4_32_10E_ZNS1_27distribution_nullary_kernelIS7_f15HIP_vector_typeIdLj2EES9_SL_SG_EEvSC_SI_RKT3_T4_EUlifE_EEvlNS_15PhiloxCudaStateESH_SI_,"axG",@progbits,_ZN2at6native12_GLOBAL__N_143distribution_elementwise_grid_stride_kernelIfLi4EZNS0_9templates4cuda21uniform_and_transformIN3c104HalfEfPNS_17CUDAGeneratorImplEZZZNS4_16geometric_kernelIS9_EEvRNS_18TensorIteratorBaseEdT_ENKUlvE_clEvENKUlvE6_clEvEUlfE_EEvSC_T1_T2_EUlP25hiprandStatePhilox4_32_10E_ZNS1_27distribution_nullary_kernelIS7_f15HIP_vector_typeIdLj2EES9_SL_SG_EEvSC_SI_RKT3_T4_EUlifE_EEvlNS_15PhiloxCudaStateESH_SI_,comdat
	.globl	_ZN2at6native12_GLOBAL__N_143distribution_elementwise_grid_stride_kernelIfLi4EZNS0_9templates4cuda21uniform_and_transformIN3c104HalfEfPNS_17CUDAGeneratorImplEZZZNS4_16geometric_kernelIS9_EEvRNS_18TensorIteratorBaseEdT_ENKUlvE_clEvENKUlvE6_clEvEUlfE_EEvSC_T1_T2_EUlP25hiprandStatePhilox4_32_10E_ZNS1_27distribution_nullary_kernelIS7_f15HIP_vector_typeIdLj2EES9_SL_SG_EEvSC_SI_RKT3_T4_EUlifE_EEvlNS_15PhiloxCudaStateESH_SI_ ; -- Begin function _ZN2at6native12_GLOBAL__N_143distribution_elementwise_grid_stride_kernelIfLi4EZNS0_9templates4cuda21uniform_and_transformIN3c104HalfEfPNS_17CUDAGeneratorImplEZZZNS4_16geometric_kernelIS9_EEvRNS_18TensorIteratorBaseEdT_ENKUlvE_clEvENKUlvE6_clEvEUlfE_EEvSC_T1_T2_EUlP25hiprandStatePhilox4_32_10E_ZNS1_27distribution_nullary_kernelIS7_f15HIP_vector_typeIdLj2EES9_SL_SG_EEvSC_SI_RKT3_T4_EUlifE_EEvlNS_15PhiloxCudaStateESH_SI_
	.p2align	8
	.type	_ZN2at6native12_GLOBAL__N_143distribution_elementwise_grid_stride_kernelIfLi4EZNS0_9templates4cuda21uniform_and_transformIN3c104HalfEfPNS_17CUDAGeneratorImplEZZZNS4_16geometric_kernelIS9_EEvRNS_18TensorIteratorBaseEdT_ENKUlvE_clEvENKUlvE6_clEvEUlfE_EEvSC_T1_T2_EUlP25hiprandStatePhilox4_32_10E_ZNS1_27distribution_nullary_kernelIS7_f15HIP_vector_typeIdLj2EES9_SL_SG_EEvSC_SI_RKT3_T4_EUlifE_EEvlNS_15PhiloxCudaStateESH_SI_,@function
_ZN2at6native12_GLOBAL__N_143distribution_elementwise_grid_stride_kernelIfLi4EZNS0_9templates4cuda21uniform_and_transformIN3c104HalfEfPNS_17CUDAGeneratorImplEZZZNS4_16geometric_kernelIS9_EEvRNS_18TensorIteratorBaseEdT_ENKUlvE_clEvENKUlvE6_clEvEUlfE_EEvSC_T1_T2_EUlP25hiprandStatePhilox4_32_10E_ZNS1_27distribution_nullary_kernelIS7_f15HIP_vector_typeIdLj2EES9_SL_SG_EEvSC_SI_RKT3_T4_EUlifE_EEvlNS_15PhiloxCudaStateESH_SI_: ; @_ZN2at6native12_GLOBAL__N_143distribution_elementwise_grid_stride_kernelIfLi4EZNS0_9templates4cuda21uniform_and_transformIN3c104HalfEfPNS_17CUDAGeneratorImplEZZZNS4_16geometric_kernelIS9_EEvRNS_18TensorIteratorBaseEdT_ENKUlvE_clEvENKUlvE6_clEvEUlfE_EEvSC_T1_T2_EUlP25hiprandStatePhilox4_32_10E_ZNS1_27distribution_nullary_kernelIS7_f15HIP_vector_typeIdLj2EES9_SL_SG_EEvSC_SI_RKT3_T4_EUlifE_EEvlNS_15PhiloxCudaStateESH_SI_
; %bb.0:
	s_clause 0x2
	s_load_b64 s[8:9], s[0:1], 0x10
	s_load_b128 s[4:7], s[0:1], 0x0
	s_load_b32 s2, s[0:1], 0x20
	s_waitcnt lgkmcnt(0)
	v_dual_mov_b32 v2, s8 :: v_dual_mov_b32 v3, s9
	v_dual_mov_b32 v9, s7 :: v_dual_mov_b32 v8, s6
	s_bitcmp0_b32 s2, 0
	s_mov_b32 s2, 0
	s_cbranch_scc1 .LBB28_2
; %bb.1:
	v_dual_mov_b32 v1, s8 :: v_dual_mov_b32 v2, s9
	v_dual_mov_b32 v4, s6 :: v_dual_mov_b32 v5, s7
	s_load_b64 s[6:7], s[0:1], 0x18
	flat_load_b64 v[2:3], v[1:2]
	flat_load_b64 v[8:9], v[4:5]
	s_waitcnt vmcnt(1) lgkmcnt(0)
	v_add_co_u32 v2, vcc_lo, v2, s6
	v_add_co_ci_u32_e32 v3, vcc_lo, s7, v3, vcc_lo
.LBB28_2:
	s_clause 0x1
	s_load_b32 s3, s[0:1], 0x54
	s_load_b32 s11, s[0:1], 0x48
	s_waitcnt lgkmcnt(0)
	s_and_b32 s10, s3, 0xffff
	s_add_u32 s6, s4, -1
	s_mul_i32 s8, s11, s10
	s_addc_u32 s3, s5, -1
	s_lshl_b32 s9, s8, 2
	s_cmp_lg_u64 s[2:3], 0
	s_cbranch_scc0 .LBB28_27
; %bb.3:
	v_cvt_f32_ubyte0_e32 v1, 0
	v_cvt_f32_u32_e32 v4, s9
	s_sub_u32 s12, 0, s9
	s_subb_u32 s13, 0, 0
	s_delay_alu instid0(VALU_DEP_1) | instskip(NEXT) | instid1(VALU_DEP_1)
	v_fmamk_f32 v1, v1, 0x4f800000, v4
	v_rcp_f32_e32 v1, v1
	s_waitcnt_depctr 0xfff
	v_mul_f32_e32 v1, 0x5f7ffffc, v1
	s_delay_alu instid0(VALU_DEP_1) | instskip(NEXT) | instid1(VALU_DEP_1)
	v_mul_f32_e32 v4, 0x2f800000, v1
	v_trunc_f32_e32 v4, v4
	s_delay_alu instid0(VALU_DEP_1) | instskip(SKIP_1) | instid1(VALU_DEP_2)
	v_fmamk_f32 v1, v4, 0xcf800000, v1
	v_cvt_u32_f32_e32 v4, v4
	v_cvt_u32_f32_e32 v1, v1
	s_delay_alu instid0(VALU_DEP_2) | instskip(NEXT) | instid1(VALU_DEP_2)
	v_readfirstlane_b32 s2, v4
	v_readfirstlane_b32 s7, v1
	s_delay_alu instid0(VALU_DEP_2) | instskip(NEXT) | instid1(VALU_DEP_1)
	s_mul_i32 s14, s12, s2
	s_mul_hi_u32 s17, s12, s7
	s_mul_i32 s16, s13, s7
	s_add_i32 s14, s17, s14
	s_mul_i32 s18, s12, s7
	s_add_i32 s14, s14, s16
	s_mul_hi_u32 s17, s7, s18
	s_mul_hi_u32 s19, s2, s18
	s_mul_i32 s16, s2, s18
	s_mul_hi_u32 s18, s7, s14
	s_mul_i32 s7, s7, s14
	s_mul_hi_u32 s20, s2, s14
	s_add_u32 s7, s17, s7
	s_addc_u32 s17, 0, s18
	s_add_u32 s7, s7, s16
	s_mul_i32 s14, s2, s14
	s_addc_u32 s7, s17, s19
	s_addc_u32 s16, s20, 0
	s_add_u32 s7, s7, s14
	s_addc_u32 s14, 0, s16
	v_add_co_u32 v1, s7, v1, s7
	s_delay_alu instid0(VALU_DEP_1) | instskip(SKIP_1) | instid1(VALU_DEP_1)
	s_cmp_lg_u32 s7, 0
	s_addc_u32 s2, s2, s14
	v_readfirstlane_b32 s7, v1
	s_mul_i32 s14, s12, s2
	s_delay_alu instid0(VALU_DEP_1)
	s_mul_hi_u32 s16, s12, s7
	s_mul_i32 s13, s13, s7
	s_add_i32 s14, s16, s14
	s_mul_i32 s12, s12, s7
	s_add_i32 s14, s14, s13
	s_mul_hi_u32 s16, s2, s12
	s_mul_i32 s17, s2, s12
	s_mul_hi_u32 s12, s7, s12
	s_mul_hi_u32 s18, s7, s14
	s_mul_i32 s7, s7, s14
	s_mul_hi_u32 s13, s2, s14
	s_add_u32 s7, s12, s7
	s_addc_u32 s12, 0, s18
	s_add_u32 s7, s7, s17
	s_mul_i32 s14, s2, s14
	s_addc_u32 s7, s12, s16
	s_addc_u32 s12, s13, 0
	s_add_u32 s7, s7, s14
	s_addc_u32 s12, 0, s12
	v_add_co_u32 v1, s7, v1, s7
	s_delay_alu instid0(VALU_DEP_1) | instskip(SKIP_2) | instid1(VALU_DEP_1)
	s_cmp_lg_u32 s7, 0
	s_addc_u32 s7, s2, s12
	s_ashr_i32 s12, s3, 31
	v_readfirstlane_b32 s14, v1
	s_add_u32 s2, s6, s12
	s_mov_b32 s13, s12
	s_addc_u32 s3, s3, s12
	s_delay_alu instid0(SALU_CYCLE_1) | instskip(NEXT) | instid1(SALU_CYCLE_1)
	s_xor_b64 s[2:3], s[2:3], s[12:13]
	s_mul_i32 s17, s2, s7
	s_mul_hi_u32 s18, s2, s14
	s_mul_hi_u32 s16, s2, s7
	;; [unrolled: 1-line block ×3, first 2 shown]
	s_mul_i32 s14, s3, s14
	s_add_u32 s17, s18, s17
	s_addc_u32 s16, 0, s16
	s_mul_hi_u32 s19, s3, s7
	s_add_u32 s14, s17, s14
	s_mul_i32 s7, s3, s7
	s_addc_u32 s14, s16, s20
	s_addc_u32 s16, s19, 0
	s_add_u32 s7, s14, s7
	s_addc_u32 s14, 0, s16
	s_mul_i32 s17, s9, s7
	s_add_u32 s16, s7, 1
	v_sub_co_u32 v1, s2, s2, s17
	s_mul_hi_u32 s17, s9, s7
	s_addc_u32 s18, s14, 0
	s_mul_i32 s19, s9, s14
	s_delay_alu instid0(VALU_DEP_1)
	v_sub_co_u32 v4, s20, v1, s9
	s_add_u32 s21, s7, 2
	s_addc_u32 s22, s14, 0
	s_add_i32 s17, s17, s19
	s_cmp_lg_u32 s2, 0
	v_readfirstlane_b32 s2, v4
	s_subb_u32 s3, s3, s17
	s_cmp_lg_u32 s20, 0
	s_subb_u32 s17, s3, 0
	s_delay_alu instid0(VALU_DEP_1) | instskip(SKIP_4) | instid1(SALU_CYCLE_1)
	s_cmp_ge_u32 s2, s9
	s_cselect_b32 s2, -1, 0
	s_cmp_eq_u32 s17, 0
	v_readfirstlane_b32 s17, v1
	s_cselect_b32 s2, s2, -1
	s_cmp_lg_u32 s2, 0
	s_cselect_b32 s2, s21, s16
	s_cselect_b32 s16, s22, s18
	s_cmp_ge_u32 s17, s9
	s_cselect_b32 s17, -1, 0
	s_cmp_eq_u32 s3, 0
	s_cselect_b32 s3, s17, -1
	s_delay_alu instid0(SALU_CYCLE_1) | instskip(SKIP_2) | instid1(SALU_CYCLE_1)
	s_cmp_lg_u32 s3, 0
	s_cselect_b32 s3, s16, s14
	s_cselect_b32 s2, s2, s7
	s_xor_b64 s[2:3], s[2:3], s[12:13]
	s_delay_alu instid0(SALU_CYCLE_1)
	s_sub_u32 s2, s2, s12
	s_subb_u32 s3, s3, s12
	s_cbranch_execnz .LBB28_5
.LBB28_4:
	v_cvt_f32_u32_e32 v1, s9
	s_sub_i32 s3, 0, s9
	s_delay_alu instid0(VALU_DEP_1) | instskip(SKIP_2) | instid1(VALU_DEP_1)
	v_rcp_iflag_f32_e32 v1, v1
	s_waitcnt_depctr 0xfff
	v_mul_f32_e32 v1, 0x4f7ffffe, v1
	v_cvt_u32_f32_e32 v1, v1
	s_delay_alu instid0(VALU_DEP_1) | instskip(NEXT) | instid1(VALU_DEP_1)
	v_readfirstlane_b32 s2, v1
	s_mul_i32 s3, s3, s2
	s_delay_alu instid0(SALU_CYCLE_1) | instskip(NEXT) | instid1(SALU_CYCLE_1)
	s_mul_hi_u32 s3, s2, s3
	s_add_i32 s2, s2, s3
	s_delay_alu instid0(SALU_CYCLE_1) | instskip(NEXT) | instid1(SALU_CYCLE_1)
	s_mul_hi_u32 s2, s6, s2
	s_mul_i32 s3, s2, s9
	s_delay_alu instid0(SALU_CYCLE_1)
	s_sub_i32 s3, s6, s3
	s_add_i32 s6, s2, 1
	s_sub_i32 s7, s3, s9
	s_cmp_ge_u32 s3, s9
	s_cselect_b32 s2, s6, s2
	s_cselect_b32 s3, s7, s3
	s_add_i32 s6, s2, 1
	s_cmp_ge_u32 s3, s9
	s_mov_b32 s3, 0
	s_cselect_b32 s2, s6, s2
.LBB28_5:
	v_mov_b32_e32 v1, 0
	s_add_u32 s2, s2, 1
	s_addc_u32 s3, s3, 0
	s_mul_hi_u32 s6, s8, s2
	s_mul_i32 s3, s8, s3
	v_mad_u64_u32 v[10:11], null, s10, s15, v[0:1]
	s_mul_hi_u32 s7, s11, s10
	s_add_i32 s3, s6, s3
	s_mul_i32 s7, s7, s2
	s_mul_i32 s2, s8, s2
	s_add_i32 s3, s3, s7
	s_mov_b32 s6, exec_lo
	s_lshl_b64 s[2:3], s[2:3], 2
	s_delay_alu instid0(SALU_CYCLE_1)
	v_cmpx_gt_i64_e64 s[2:3], v[10:11]
	s_cbranch_execz .LBB28_26
; %bb.6:
	s_load_b64 s[6:7], s[0:1], 0x40
	v_alignbit_b32 v21, v3, v2, 2
	v_lshrrev_b32_e32 v22, 2, v3
	s_waitcnt vmcnt(0)
	v_add_co_u32 v20, null, 0x9e3779b9, v8
	v_add_co_u32 v23, null, 0x3c6ef372, v8
	;; [unrolled: 1-line block ×5, first 2 shown]
	s_add_i32 s16, s15, s11
	s_mul_i32 s13, s11, 3
	v_add_co_u32 v26, null, 0xf1bbcdc8, v8
	s_add_i32 s13, s15, s13
	v_mov_b32_e32 v40, v9
	s_waitcnt lgkmcnt(0)
	v_cvt_f32_f64_e32 v32, s[6:7]
	s_clause 0x1
	s_load_b64 s[6:7], s[0:1], 0x30
	s_load_b32 s12, s[0:1], 0x38
	s_mov_b32 s1, 0x3e9b6dac
	s_mov_b32 s0, 0
	v_add_co_u32 v27, null, 0xbb67ae85, v40
	v_log_f32_e32 v33, s0
	s_delay_alu instid0(VALU_DEP_2) | instskip(SKIP_1) | instid1(VALU_DEP_2)
	v_sub_f32_e32 v1, 1.0, v32
	v_cmp_gt_f32_e64 s14, 0x33800000, |v32|
	v_cvt_f64_f32_e32 v[4:5], v1
	s_delay_alu instid0(VALU_DEP_1) | instskip(SKIP_1) | instid1(VALU_DEP_1)
	v_frexp_exp_i32_f64_e32 v4, v[4:5]
	v_frexp_mant_f32_e32 v5, v1
	v_cmp_gt_f32_e32 vcc_lo, 0x3f2aaaab, v5
	v_add_f32_e32 v5, -1.0, v1
	s_delay_alu instid0(VALU_DEP_1) | instskip(SKIP_3) | instid1(VALU_DEP_2)
	v_sub_f32_e32 v7, v5, v1
	v_sub_f32_e64 v5, -v32, v5
	v_subrev_co_ci_u32_e32 v4, vcc_lo, 0, v4, vcc_lo
	v_cmp_eq_f32_e32 vcc_lo, 0xff800000, v32
	v_sub_nc_u32_e32 v6, 0, v4
	v_cvt_f32_i32_e32 v4, v4
	s_delay_alu instid0(VALU_DEP_2) | instskip(NEXT) | instid1(VALU_DEP_1)
	v_ldexp_f32 v1, v1, v6
	v_dual_add_f32 v7, 1.0, v7 :: v_dual_add_f32 v12, 1.0, v1
	s_delay_alu instid0(VALU_DEP_1) | instskip(NEXT) | instid1(VALU_DEP_1)
	v_add_f32_e32 v5, v5, v7
	v_ldexp_f32 v5, v5, v6
	s_delay_alu instid0(VALU_DEP_3) | instskip(NEXT) | instid1(VALU_DEP_1)
	v_dual_add_f32 v6, -1.0, v1 :: v_dual_add_f32 v7, -1.0, v12
	v_add_f32_e32 v13, 1.0, v6
	s_delay_alu instid0(VALU_DEP_2) | instskip(NEXT) | instid1(VALU_DEP_2)
	v_sub_f32_e32 v7, v1, v7
	v_sub_f32_e32 v1, v1, v13
	s_delay_alu instid0(VALU_DEP_1) | instskip(NEXT) | instid1(VALU_DEP_1)
	v_add_f32_e32 v1, v5, v1
	v_dual_add_f32 v14, v6, v1 :: v_dual_add_f32 v7, v5, v7
	s_delay_alu instid0(VALU_DEP_1) | instskip(NEXT) | instid1(VALU_DEP_1)
	v_dual_sub_f32 v6, v14, v6 :: v_dual_add_f32 v13, v12, v7
	v_sub_f32_e32 v1, v1, v6
	s_delay_alu instid0(VALU_DEP_2) | instskip(SKIP_1) | instid1(VALU_DEP_1)
	v_rcp_f32_e32 v5, v13
	v_sub_f32_e32 v12, v13, v12
	v_sub_f32_e32 v7, v7, v12
	s_waitcnt_depctr 0xfff
	v_mul_f32_e32 v15, v14, v5
	s_delay_alu instid0(VALU_DEP_1) | instskip(NEXT) | instid1(VALU_DEP_1)
	v_mul_f32_e32 v16, v13, v15
	v_fma_f32 v12, v15, v13, -v16
	s_delay_alu instid0(VALU_DEP_1) | instskip(NEXT) | instid1(VALU_DEP_1)
	v_fmac_f32_e32 v12, v15, v7
	v_add_f32_e32 v17, v16, v12
	s_delay_alu instid0(VALU_DEP_1) | instskip(SKIP_1) | instid1(VALU_DEP_2)
	v_sub_f32_e32 v18, v14, v17
	v_sub_f32_e32 v6, v17, v16
	;; [unrolled: 1-line block ×3, first 2 shown]
	s_delay_alu instid0(VALU_DEP_2) | instskip(NEXT) | instid1(VALU_DEP_2)
	v_sub_f32_e32 v6, v6, v12
	v_sub_f32_e32 v14, v14, v17
	s_delay_alu instid0(VALU_DEP_1) | instskip(NEXT) | instid1(VALU_DEP_1)
	v_add_f32_e32 v1, v1, v14
	v_add_f32_e32 v1, v6, v1
	s_delay_alu instid0(VALU_DEP_1) | instskip(NEXT) | instid1(VALU_DEP_1)
	v_add_f32_e32 v6, v18, v1
	v_mul_f32_e32 v12, v5, v6
	v_sub_f32_e32 v17, v18, v6
	v_add_co_u32 v18, null, 0x1715609d, v8
	s_delay_alu instid0(VALU_DEP_3) | instskip(NEXT) | instid1(VALU_DEP_3)
	v_mul_f32_e32 v14, v13, v12
	v_add_f32_e32 v1, v1, v17
	v_add_co_u32 v17, null, 0x5384540f, v8
	s_delay_alu instid0(VALU_DEP_3) | instskip(NEXT) | instid1(VALU_DEP_1)
	v_fma_f32 v13, v12, v13, -v14
	v_fmac_f32_e32 v13, v12, v7
	s_delay_alu instid0(VALU_DEP_1) | instskip(NEXT) | instid1(VALU_DEP_1)
	v_add_f32_e32 v7, v14, v13
	v_sub_f32_e32 v16, v6, v7
	s_delay_alu instid0(VALU_DEP_1) | instskip(NEXT) | instid1(VALU_DEP_1)
	v_sub_f32_e32 v6, v6, v16
	v_sub_f32_e32 v6, v6, v7
	s_delay_alu instid0(VALU_DEP_1) | instskip(SKIP_1) | instid1(VALU_DEP_1)
	v_dual_add_f32 v1, v1, v6 :: v_dual_add_f32 v6, v15, v12
	v_sub_f32_e32 v14, v7, v14
	v_dual_sub_f32 v7, v14, v13 :: v_dual_and_b32 v14, 3, v2
	s_delay_alu instid0(VALU_DEP_1) | instskip(NEXT) | instid1(VALU_DEP_4)
	v_add_f32_e32 v1, v7, v1
	v_sub_f32_e32 v7, v6, v15
	s_delay_alu instid0(VALU_DEP_2) | instskip(NEXT) | instid1(VALU_DEP_2)
	v_add_f32_e32 v1, v16, v1
	v_dual_sub_f32 v7, v12, v7 :: v_dual_add_nc_u32 v16, 0x96a522ad, v9
	s_delay_alu instid0(VALU_DEP_2) | instskip(NEXT) | instid1(VALU_DEP_1)
	v_mul_f32_e32 v1, v5, v1
	v_add_f32_e32 v1, v7, v1
	s_delay_alu instid0(VALU_DEP_1) | instskip(NEXT) | instid1(VALU_DEP_1)
	v_add_f32_e32 v5, v6, v1
	v_mul_f32_e32 v7, v5, v5
	s_delay_alu instid0(VALU_DEP_1) | instskip(SKIP_2) | instid1(VALU_DEP_2)
	v_fmaak_f32 v12, s1, v7, 0x3ecc95a3
	v_mul_f32_e32 v13, v5, v7
	s_lshl_b32 s1, s8, 1
	v_fmaak_f32 v7, v7, v12, 0x3f2aaada
	v_ldexp_f32 v12, v5, 1
	v_sub_f32_e32 v5, v5, v6
	s_delay_alu instid0(VALU_DEP_3) | instskip(SKIP_1) | instid1(VALU_DEP_3)
	v_mul_f32_e32 v7, v13, v7
	v_mul_f32_e32 v13, 0x3f317218, v4
	v_sub_f32_e32 v5, v1, v5
	v_mad_u64_u32 v[1:2], null, 0xcd9e8d57, v10, 0
	s_delay_alu instid0(VALU_DEP_4) | instskip(NEXT) | instid1(VALU_DEP_4)
	v_add_f32_e32 v6, v12, v7
	v_fma_f32 v3, 0x3f317218, v4, -v13
	s_delay_alu instid0(VALU_DEP_4) | instskip(NEXT) | instid1(VALU_DEP_3)
	v_ldexp_f32 v5, v5, 1
	v_sub_f32_e32 v12, v6, v12
	v_xor3_b32 v2, v8, v2, v22
	s_delay_alu instid0(VALU_DEP_2) | instskip(SKIP_1) | instid1(VALU_DEP_2)
	v_dual_sub_f32 v7, v7, v12 :: v_dual_fmamk_f32 v12, v4, 0xb102e308, v3
	v_mad_u64_u32 v[3:4], null, 0xd2511f53, v21, 0
	v_add_f32_e32 v7, v5, v7
	s_delay_alu instid0(VALU_DEP_1) | instskip(SKIP_1) | instid1(VALU_DEP_4)
	v_dual_add_f32 v28, v13, v12 :: v_dual_add_f32 v29, v6, v7
	v_add_nc_u32_e32 v15, 0x8ff34781, v8
	v_xor_b32_e32 v31, v4, v9
	v_mad_u64_u32 v[4:5], null, 0xd2511f53, v2, 0
	s_delay_alu instid0(VALU_DEP_4) | instskip(SKIP_1) | instid1(VALU_DEP_4)
	v_add_f32_e32 v30, v28, v29
	v_dual_sub_f32 v13, v28, v13 :: v_dual_sub_f32 v6, v29, v6
	v_xor_b32_e32 v31, v31, v11
	s_delay_alu instid0(VALU_DEP_3) | instskip(NEXT) | instid1(VALU_DEP_3)
	v_sub_f32_e32 v2, v30, v28
	v_dual_sub_f32 v36, v12, v13 :: v_dual_sub_f32 v7, v7, v6
	v_xor3_b32 v35, v27, v5, v3
	s_delay_alu instid0(VALU_DEP_3) | instskip(SKIP_3) | instid1(VALU_DEP_4)
	v_sub_f32_e32 v34, v30, v2
	v_sub_f32_e32 v12, v29, v2
	v_mad_u64_u32 v[2:3], null, 0xcd9e8d57, v31, 0
	v_add_f32_e32 v29, v36, v7
	v_sub_f32_e32 v13, v28, v34
	v_mad_u64_u32 v[5:6], null, 0xcd9e8d57, v35, 0
	s_delay_alu instid0(VALU_DEP_2) | instskip(SKIP_3) | instid1(VALU_DEP_4)
	v_add_f32_e32 v28, v12, v13
	v_mad_u64_u32 v[12:13], null, s15, s10, v[0:1]
	v_sub_f32_e32 v13, v29, v36
	v_xor3_b32 v3, v20, v3, v1
	v_add_f32_e32 v31, v29, v28
	v_xor3_b32 v34, v23, v6, v2
	v_add_co_u32 v28, null, 0x76cf5d0a, v40
	s_delay_alu instid0(VALU_DEP_3) | instskip(SKIP_2) | instid1(VALU_DEP_3)
	v_dual_sub_f32 v6, v29, v13 :: v_dual_add_f32 v35, v30, v31
	v_mad_u64_u32 v[1:2], null, 0xd2511f53, v3, 0
	v_sub_f32_e32 v3, v7, v13
	v_sub_f32_e32 v13, v36, v6
	s_delay_alu instid0(VALU_DEP_4) | instskip(SKIP_2) | instid1(VALU_DEP_4)
	v_sub_f32_e32 v30, v35, v30
	v_mad_u64_u32 v[6:7], null, 0xd2511f53, v34, 0
	v_add_co_u32 v29, null, 0x32370b8f, v40
	v_add_f32_e32 v3, v3, v13
	s_delay_alu instid0(VALU_DEP_4)
	v_sub_f32_e32 v13, v31, v30
	v_xor3_b32 v4, v28, v2, v4
	v_mul_f32_e32 v34, 0x3f317217, v33
	v_xor3_b32 v7, v29, v7, v1
	v_add_co_u32 v30, null, 0xed9eba14, v40
	v_add_f32_e32 v13, v3, v13
	v_mad_u64_u32 v[1:2], null, 0xcd9e8d57, v4, 0
	s_delay_alu instid0(VALU_DEP_4) | instskip(NEXT) | instid1(VALU_DEP_3)
	v_mad_u64_u32 v[3:4], null, 0xcd9e8d57, v7, 0
	v_add_f32_e32 v7, v35, v13
	v_fma_f32 v36, 0x3f317217, v33, -v34
	v_add_co_u32 v31, null, 0xa9066899, v40
	v_xor3_b32 v5, v19, v2, v5
	s_delay_alu instid0(VALU_DEP_4)
	v_cndmask_b32_e64 v7, v7, -v32, vcc_lo
	v_cmp_nlt_f32_e32 vcc_lo, 1.0, v32
	v_xor3_b32 v13, v24, v4, v1
	v_fmac_f32_e32 v36, 0x3377d1cf, v33
	v_mad_u64_u32 v[1:2], null, 0xd2511f53, v5, 0
	v_cndmask_b32_e32 v7, 0x7fc00000, v7, vcc_lo
	v_cmp_neq_f32_e32 vcc_lo, 1.0, v32
	s_delay_alu instid0(VALU_DEP_4)
	v_add_f32_e32 v34, v34, v36
	v_mad_u64_u32 v[4:5], null, 0xd2511f53, v13, 0
	v_add_co_u32 v35, null, 0x1fd5c5a3, v40
	v_cndmask_b32_e32 v7, 0xff800000, v7, vcc_lo
	v_cmp_gt_f32_e64 vcc_lo, 0x7f800000, |v33|
	v_xor3_b32 v2, v30, v2, v6
	v_xor3_b32 v5, v31, v5, v1
	s_delay_alu instid0(VALU_DEP_4) | instskip(SKIP_1) | instid1(VALU_DEP_4)
	v_cndmask_b32_e64 v32, v7, -v32, s14
	v_cndmask_b32_e32 v13, v33, v34, vcc_lo
	v_mad_u64_u32 v[6:7], null, 0xcd9e8d57, v2, 0
	s_delay_alu instid0(VALU_DEP_4) | instskip(NEXT) | instid1(VALU_DEP_3)
	v_mad_u64_u32 v[1:2], null, 0xcd9e8d57, v5, 0
	v_div_scale_f32 v45, null, v32, v32, v13
	v_add_co_u32 v34, null, 0x646e171e, v40
	s_delay_alu instid0(VALU_DEP_4) | instskip(NEXT) | instid1(VALU_DEP_3)
	v_xor3_b32 v3, v18, v7, v3
	v_rcp_f32_e32 v46, v45
	s_delay_alu instid0(VALU_DEP_4) | instskip(SKIP_1) | instid1(VALU_DEP_3)
	v_xor3_b32 v5, v25, v2, v6
	v_div_scale_f32 v47, vcc_lo, v13, v32, v13
	v_mad_u64_u32 v[36:37], null, 0xd2511f53, v3, 0
	s_delay_alu instid0(VALU_DEP_3)
	v_mad_u64_u32 v[2:3], null, 0xd2511f53, v5, 0
	v_mad_u64_u32 v[38:39], null, s13, s10, v[0:1]
	s_waitcnt_depctr 0xfff
	v_fma_f32 v6, -v45, v46, 1.0
	s_lshl_b32 s14, s11, 1
	v_xor3_b32 v7, v34, v37, v4
	s_add_i32 s15, s15, s14
	v_xor3_b32 v3, v35, v3, v36
	v_fmac_f32_e32 v46, v6, v46
	v_add_co_u32 v36, null, 0xdb3d7428, v40
	v_mad_u64_u32 v[4:5], null, 0xcd9e8d57, v7, 0
	v_mad_u64_u32 v[6:7], null, s16, s10, v[0:1]
	s_delay_alu instid0(VALU_DEP_4)
	v_mul_f32_e32 v7, v47, v46
	v_mad_u64_u32 v[41:42], null, 0xcd9e8d57, v3, 0
	s_waitcnt lgkmcnt(0)
	v_mul_lo_u32 v37, s12, v12
	v_xor3_b32 v1, v17, v5, v1
	v_fma_f32 v5, -v45, v7, v47
	v_mul_lo_u32 v38, s12, v38
	s_mul_i32 s11, s11, s12
	v_mov_b32_e32 v33, v10
	v_mad_u64_u32 v[43:44], null, 0xd2511f53, v1, 0
	v_fmac_f32_e32 v7, v5, v46
	v_mad_u64_u32 v[39:40], null, s15, s10, v[0:1]
	v_xor3_b32 v3, v26, v42, v4
	v_mov_b32_e32 v42, v11
	s_delay_alu instid0(VALU_DEP_4)
	v_fma_f32 v0, -v45, v7, v47
	v_xor3_b32 v2, v36, v44, v2
	v_mul_lo_u32 v40, s12, v6
	s_mul_i32 s11, s11, s10
	v_mul_lo_u32 v39, s12, v39
	v_div_fmas_f32 v7, v0, v46, v7
	v_mad_u64_u32 v[4:5], null, 0xcd9e8d57, v2, 0
	v_mad_u64_u32 v[0:1], null, 0xd2511f53, v3, 0
	s_delay_alu instid0(VALU_DEP_3) | instskip(SKIP_3) | instid1(VALU_DEP_3)
	v_div_fixup_f32 v2, v7, v32, v13
	s_mul_i32 s10, s8, 3
	s_lshl_b32 s11, s11, 2
	s_mov_b32 s12, 0
	v_xor3_b32 v3, v5, v41, v15
	v_ceil_f32_e32 v2, v2
	s_delay_alu instid0(VALU_DEP_4) | instskip(SKIP_1) | instid1(VALU_DEP_3)
	v_mov_b32_e32 v6, v0
	v_xor3_b32 v5, v1, v43, v16
	v_cvt_f16_f32_e32 v41, v2
	s_branch .LBB28_8
.LBB28_7:                               ;   in Loop: Header=BB28_8 Depth=1
	s_or_b32 exec_lo, exec_lo, s13
	v_add_co_u32 v10, vcc_lo, v10, s9
	v_add_co_ci_u32_e32 v11, vcc_lo, 0, v11, vcc_lo
	v_mov_b32_e32 v3, v12
	s_add_i32 s12, s12, s11
	s_waitcnt_vscnt null, 0x0
	s_delay_alu instid0(VALU_DEP_2)
	v_cmp_le_i64_e32 vcc_lo, s[2:3], v[10:11]
	s_barrier
	v_mov_b32_e32 v6, v3
	v_dual_mov_b32 v5, v2 :: v_dual_mov_b32 v4, v1
	v_mov_b32_e32 v3, v0
	s_or_b32 s0, vcc_lo, s0
	buffer_gl0_inv
	s_and_not1_b32 exec_lo, exec_lo, s0
	s_cbranch_execz .LBB28_26
.LBB28_8:                               ; =>This Inner Loop Header: Depth=1
	v_add_co_u32 v21, vcc_lo, v21, 1
	s_delay_alu instid0(VALU_DEP_1) | instskip(SKIP_2) | instid1(VALU_DEP_1)
	v_cndmask_b32_e64 v0, 0, 1, vcc_lo
	v_add_co_ci_u32_e32 v22, vcc_lo, 0, v22, vcc_lo
	s_mov_b32 s13, exec_lo
	v_cmp_eq_u32_e32 vcc_lo, 0, v22
	s_delay_alu instid0(VALU_DEP_3) | instskip(NEXT) | instid1(VALU_DEP_1)
	v_cndmask_b32_e32 v0, 0, v0, vcc_lo
	v_add_nc_u32_e32 v33, v0, v33
	s_delay_alu instid0(VALU_DEP_1) | instskip(SKIP_2) | instid1(VALU_DEP_2)
	v_cmp_eq_u32_e32 vcc_lo, 0, v33
	v_cndmask_b32_e32 v0, 0, v0, vcc_lo
	v_mad_u64_u32 v[12:13], null, 0xcd9e8d57, v33, 0
	v_add_nc_u32_e32 v42, v0, v42
	v_mad_u64_u32 v[0:1], null, 0xd2511f53, v21, 0
	s_delay_alu instid0(VALU_DEP_3) | instskip(NEXT) | instid1(VALU_DEP_2)
	v_xor3_b32 v7, v13, v8, v22
	v_xor_b32_e32 v1, v1, v9
	s_delay_alu instid0(VALU_DEP_1) | instskip(NEXT) | instid1(VALU_DEP_3)
	v_xor_b32_e32 v13, v42, v1
	v_mad_u64_u32 v[1:2], null, 0xd2511f53, v7, 0
	s_delay_alu instid0(VALU_DEP_2) | instskip(NEXT) | instid1(VALU_DEP_2)
	v_mad_u64_u32 v[43:44], null, 0xcd9e8d57, v13, 0
	v_xor3_b32 v0, v27, v2, v0
	s_delay_alu instid0(VALU_DEP_2) | instskip(NEXT) | instid1(VALU_DEP_2)
	v_xor3_b32 v2, v20, v44, v12
	v_mad_u64_u32 v[12:13], null, 0xcd9e8d57, v0, 0
	s_delay_alu instid0(VALU_DEP_2) | instskip(NEXT) | instid1(VALU_DEP_2)
	v_mad_u64_u32 v[44:45], null, 0xd2511f53, v2, 0
	v_xor3_b32 v2, v23, v13, v43
	s_delay_alu instid0(VALU_DEP_2) | instskip(NEXT) | instid1(VALU_DEP_2)
	v_xor3_b32 v7, v28, v45, v1
	v_mad_u64_u32 v[0:1], null, 0xd2511f53, v2, 0
	s_delay_alu instid0(VALU_DEP_2) | instskip(NEXT) | instid1(VALU_DEP_2)
	v_mad_u64_u32 v[45:46], null, 0xcd9e8d57, v7, 0
	v_xor3_b32 v7, v29, v1, v44
	s_delay_alu instid0(VALU_DEP_2) | instskip(NEXT) | instid1(VALU_DEP_2)
	v_xor3_b32 v43, v19, v46, v12
	v_mad_u64_u32 v[1:2], null, 0xcd9e8d57, v7, 0
	s_delay_alu instid0(VALU_DEP_2) | instskip(NEXT) | instid1(VALU_DEP_2)
	v_mad_u64_u32 v[12:13], null, 0xd2511f53, v43, 0
	v_xor3_b32 v2, v24, v2, v45
	s_delay_alu instid0(VALU_DEP_2) | instskip(NEXT) | instid1(VALU_DEP_2)
	v_xor3_b32 v0, v30, v13, v0
	v_mad_u64_u32 v[43:44], null, 0xd2511f53, v2, 0
	s_delay_alu instid0(VALU_DEP_2) | instskip(NEXT) | instid1(VALU_DEP_2)
	v_mad_u64_u32 v[45:46], null, 0xcd9e8d57, v0, 0
	v_xor3_b32 v2, v31, v44, v12
	s_delay_alu instid0(VALU_DEP_2) | instskip(NEXT) | instid1(VALU_DEP_2)
	v_xor3_b32 v7, v18, v46, v1
	v_mad_u64_u32 v[0:1], null, 0xcd9e8d57, v2, 0
	s_delay_alu instid0(VALU_DEP_2) | instskip(NEXT) | instid1(VALU_DEP_2)
	v_mad_u64_u32 v[12:13], null, 0xd2511f53, v7, 0
	v_xor3_b32 v7, v25, v1, v45
	s_delay_alu instid0(VALU_DEP_2) | instskip(NEXT) | instid1(VALU_DEP_2)
	v_xor3_b32 v13, v34, v13, v43
	v_mad_u64_u32 v[1:2], null, 0xd2511f53, v7, 0
	s_delay_alu instid0(VALU_DEP_2) | instskip(NEXT) | instid1(VALU_DEP_2)
	v_mad_u64_u32 v[43:44], null, 0xcd9e8d57, v13, 0
	v_xor3_b32 v2, v35, v2, v12
	s_delay_alu instid0(VALU_DEP_2) | instskip(NEXT) | instid1(VALU_DEP_2)
	v_xor3_b32 v0, v17, v44, v0
	v_mad_u64_u32 v[44:45], null, 0xcd9e8d57, v2, 0
	s_delay_alu instid0(VALU_DEP_2) | instskip(NEXT) | instid1(VALU_DEP_2)
	v_mad_u64_u32 v[46:47], null, 0xd2511f53, v0, 0
	v_xor3_b32 v0, v26, v45, v43
	s_delay_alu instid0(VALU_DEP_2) | instskip(NEXT) | instid1(VALU_DEP_2)
	v_xor3_b32 v7, v36, v47, v1
	v_mad_u64_u32 v[12:13], null, 0xd2511f53, v0, 0
	s_delay_alu instid0(VALU_DEP_2) | instskip(NEXT) | instid1(VALU_DEP_2)
	v_mad_u64_u32 v[1:2], null, 0xcd9e8d57, v7, 0
	v_xor3_b32 v7, v13, v46, v16
	s_delay_alu instid0(VALU_DEP_2) | instskip(NEXT) | instid1(VALU_DEP_2)
	v_xor3_b32 v0, v2, v44, v15
	v_mov_b32_e32 v2, v7
	v_cmpx_lt_i32_e32 1, v14
	s_xor_b32 s13, exec_lo, s13
	s_cbranch_execnz .LBB28_18
; %bb.9:                                ;   in Loop: Header=BB28_8 Depth=1
	s_and_not1_saveexec_b32 s13, s13
	s_cbranch_execnz .LBB28_23
.LBB28_10:                              ;   in Loop: Header=BB28_8 Depth=1
	s_or_b32 exec_lo, exec_lo, s13
	s_delay_alu instid0(SALU_CYCLE_1)
	s_mov_b32 s13, exec_lo
	v_cmpx_gt_i64_e64 s[4:5], v[10:11]
	s_cbranch_execz .LBB28_12
.LBB28_11:                              ;   in Loop: Header=BB28_8 Depth=1
	v_lshrrev_b32_e32 v4, 11, v4
	s_delay_alu instid0(VALU_DEP_1) | instskip(SKIP_1) | instid1(VALU_DEP_2)
	v_cvt_f64_u32_e32 v[43:44], v4
	v_cvt_f64_u32_e32 v[3:4], v3
	v_ldexp_f64 v[43:44], v[43:44], 32
	s_delay_alu instid0(VALU_DEP_1) | instskip(NEXT) | instid1(VALU_DEP_1)
	v_add_f64 v[3:4], v[43:44], v[3:4]
	v_fma_f64 v[3:4], 0x3ca00000, v[3:4], 0x3ca00000
	s_delay_alu instid0(VALU_DEP_1) | instskip(NEXT) | instid1(VALU_DEP_1)
	v_cvt_f32_f64_e32 v3, v[3:4]
	v_cmp_gt_f32_e32 vcc_lo, 0x800000, v3
	v_cndmask_b32_e64 v4, 1.0, 0x4f800000, vcc_lo
	s_delay_alu instid0(VALU_DEP_1) | instskip(NEXT) | instid1(VALU_DEP_1)
	v_mul_f32_e32 v3, v3, v4
	v_log_f32_e32 v3, v3
	s_waitcnt_depctr 0xfff
	v_mul_f32_e32 v4, 0x3f317217, v3
	s_delay_alu instid0(VALU_DEP_1) | instskip(NEXT) | instid1(VALU_DEP_1)
	v_fma_f32 v7, 0x3f317217, v3, -v4
	v_fmac_f32_e32 v7, 0x3377d1cf, v3
	s_delay_alu instid0(VALU_DEP_1) | instskip(SKIP_2) | instid1(VALU_DEP_3)
	v_add_f32_e32 v4, v4, v7
	v_cndmask_b32_e64 v7, 0, 0x41b17218, vcc_lo
	v_cmp_gt_f32_e64 vcc_lo, 0x7f800000, |v3|
	v_cndmask_b32_e32 v3, v3, v4, vcc_lo
	s_delay_alu instid0(VALU_DEP_1) | instskip(NEXT) | instid1(VALU_DEP_1)
	v_sub_f32_e32 v3, v3, v7
	v_div_scale_f32 v4, null, v32, v32, v3
	s_delay_alu instid0(VALU_DEP_1) | instskip(SKIP_2) | instid1(VALU_DEP_1)
	v_rcp_f32_e32 v7, v4
	s_waitcnt_depctr 0xfff
	v_fma_f32 v13, -v4, v7, 1.0
	v_fmac_f32_e32 v7, v13, v7
	v_div_scale_f32 v13, vcc_lo, v3, v32, v3
	s_delay_alu instid0(VALU_DEP_1) | instskip(NEXT) | instid1(VALU_DEP_1)
	v_mul_f32_e32 v43, v13, v7
	v_fma_f32 v44, -v4, v43, v13
	s_delay_alu instid0(VALU_DEP_1) | instskip(NEXT) | instid1(VALU_DEP_1)
	v_fmac_f32_e32 v43, v44, v7
	v_fma_f32 v4, -v4, v43, v13
	s_delay_alu instid0(VALU_DEP_1) | instskip(SKIP_1) | instid1(VALU_DEP_2)
	v_div_fmas_f32 v4, v4, v7, v43
	v_add_nc_u32_e32 v7, s12, v37
	v_div_fixup_f32 v3, v4, v32, v3
	s_delay_alu instid0(VALU_DEP_2) | instskip(NEXT) | instid1(VALU_DEP_2)
	v_ashrrev_i32_e32 v4, 31, v7
	v_ceil_f32_e32 v13, v3
	v_add_co_u32 v3, vcc_lo, s6, v7
	s_delay_alu instid0(VALU_DEP_3) | instskip(NEXT) | instid1(VALU_DEP_3)
	v_add_co_ci_u32_e32 v4, vcc_lo, s7, v4, vcc_lo
	v_cvt_f16_f32_e32 v7, v13
	global_store_b16 v[3:4], v7, off
.LBB28_12:                              ;   in Loop: Header=BB28_8 Depth=1
	s_or_b32 exec_lo, exec_lo, s13
	v_add_co_u32 v3, vcc_lo, s8, v10
	v_add_co_ci_u32_e32 v4, vcc_lo, 0, v11, vcc_lo
	s_mov_b32 s13, exec_lo
	s_delay_alu instid0(VALU_DEP_1)
	v_cmpx_gt_i64_e64 s[4:5], v[3:4]
	s_cbranch_execz .LBB28_14
; %bb.13:                               ;   in Loop: Header=BB28_8 Depth=1
	v_lshrrev_b32_e32 v3, 11, v6
	v_cvt_f64_u32_e32 v[5:6], v5
	s_delay_alu instid0(VALU_DEP_2) | instskip(NEXT) | instid1(VALU_DEP_1)
	v_cvt_f64_u32_e32 v[3:4], v3
	v_ldexp_f64 v[3:4], v[3:4], 32
	s_delay_alu instid0(VALU_DEP_1) | instskip(NEXT) | instid1(VALU_DEP_1)
	v_add_f64 v[3:4], v[3:4], v[5:6]
	v_fma_f64 v[3:4], 0x3ca00000, v[3:4], 0x3ca00000
	s_delay_alu instid0(VALU_DEP_1) | instskip(NEXT) | instid1(VALU_DEP_1)
	v_cvt_f32_f64_e32 v3, v[3:4]
	v_cmp_gt_f32_e32 vcc_lo, 0x800000, v3
	v_cndmask_b32_e64 v4, 1.0, 0x4f800000, vcc_lo
	s_delay_alu instid0(VALU_DEP_1) | instskip(NEXT) | instid1(VALU_DEP_1)
	v_mul_f32_e32 v3, v3, v4
	v_log_f32_e32 v3, v3
	s_waitcnt_depctr 0xfff
	v_mul_f32_e32 v4, 0x3f317217, v3
	s_delay_alu instid0(VALU_DEP_1) | instskip(NEXT) | instid1(VALU_DEP_1)
	v_fma_f32 v5, 0x3f317217, v3, -v4
	v_fmac_f32_e32 v5, 0x3377d1cf, v3
	s_delay_alu instid0(VALU_DEP_1) | instskip(SKIP_2) | instid1(VALU_DEP_3)
	v_add_f32_e32 v4, v4, v5
	v_cndmask_b32_e64 v5, 0, 0x41b17218, vcc_lo
	v_cmp_gt_f32_e64 vcc_lo, 0x7f800000, |v3|
	v_cndmask_b32_e32 v3, v3, v4, vcc_lo
	s_delay_alu instid0(VALU_DEP_1) | instskip(NEXT) | instid1(VALU_DEP_1)
	v_sub_f32_e32 v3, v3, v5
	v_div_scale_f32 v4, null, v32, v32, v3
	s_delay_alu instid0(VALU_DEP_1) | instskip(SKIP_2) | instid1(VALU_DEP_1)
	v_rcp_f32_e32 v5, v4
	s_waitcnt_depctr 0xfff
	v_fma_f32 v6, -v4, v5, 1.0
	v_fmac_f32_e32 v5, v6, v5
	v_div_scale_f32 v6, vcc_lo, v3, v32, v3
	s_delay_alu instid0(VALU_DEP_1) | instskip(NEXT) | instid1(VALU_DEP_1)
	v_mul_f32_e32 v7, v6, v5
	v_fma_f32 v13, -v4, v7, v6
	s_delay_alu instid0(VALU_DEP_1) | instskip(NEXT) | instid1(VALU_DEP_1)
	v_fmac_f32_e32 v7, v13, v5
	v_fma_f32 v4, -v4, v7, v6
	s_delay_alu instid0(VALU_DEP_1) | instskip(SKIP_1) | instid1(VALU_DEP_2)
	v_div_fmas_f32 v4, v4, v5, v7
	v_add_nc_u32_e32 v5, s12, v40
	v_div_fixup_f32 v3, v4, v32, v3
	s_delay_alu instid0(VALU_DEP_2) | instskip(NEXT) | instid1(VALU_DEP_2)
	v_ashrrev_i32_e32 v4, 31, v5
	v_ceil_f32_e32 v6, v3
	v_add_co_u32 v3, vcc_lo, s6, v5
	s_delay_alu instid0(VALU_DEP_3) | instskip(NEXT) | instid1(VALU_DEP_3)
	v_add_co_ci_u32_e32 v4, vcc_lo, s7, v4, vcc_lo
	v_cvt_f16_f32_e32 v5, v6
	global_store_b16 v[3:4], v5, off
.LBB28_14:                              ;   in Loop: Header=BB28_8 Depth=1
	s_or_b32 exec_lo, exec_lo, s13
	v_add_co_u32 v3, vcc_lo, s1, v10
	v_add_co_ci_u32_e32 v4, vcc_lo, 0, v11, vcc_lo
	s_mov_b32 s13, exec_lo
	s_delay_alu instid0(VALU_DEP_1)
	v_cmpx_gt_i64_e64 s[4:5], v[3:4]
	s_cbranch_execz .LBB28_16
; %bb.15:                               ;   in Loop: Header=BB28_8 Depth=1
	v_add_nc_u32_e32 v3, s12, v39
	s_delay_alu instid0(VALU_DEP_1) | instskip(SKIP_1) | instid1(VALU_DEP_2)
	v_ashrrev_i32_e32 v4, 31, v3
	v_add_co_u32 v3, vcc_lo, s6, v3
	v_add_co_ci_u32_e32 v4, vcc_lo, s7, v4, vcc_lo
	global_store_b16 v[3:4], v41, off
.LBB28_16:                              ;   in Loop: Header=BB28_8 Depth=1
	s_or_b32 exec_lo, exec_lo, s13
	v_add_co_u32 v3, vcc_lo, s10, v10
	v_add_co_ci_u32_e32 v4, vcc_lo, 0, v11, vcc_lo
	s_mov_b32 s13, exec_lo
	s_delay_alu instid0(VALU_DEP_1)
	v_cmpx_gt_i64_e64 s[4:5], v[3:4]
	s_cbranch_execz .LBB28_7
; %bb.17:                               ;   in Loop: Header=BB28_8 Depth=1
	v_add_nc_u32_e32 v3, s12, v38
	s_delay_alu instid0(VALU_DEP_1) | instskip(SKIP_1) | instid1(VALU_DEP_2)
	v_ashrrev_i32_e32 v4, 31, v3
	v_add_co_u32 v3, vcc_lo, s6, v3
	v_add_co_ci_u32_e32 v4, vcc_lo, s7, v4, vcc_lo
	global_store_b16 v[3:4], v41, off
	s_branch .LBB28_7
.LBB28_18:                              ;   in Loop: Header=BB28_8 Depth=1
	s_mov_b32 s14, exec_lo
	v_cmpx_lt_i32_e32 2, v14
	s_xor_b32 s14, exec_lo, s14
; %bb.19:                               ;   in Loop: Header=BB28_8 Depth=1
	v_dual_mov_b32 v4, v6 :: v_dual_mov_b32 v5, v0
	v_mov_b32_e32 v6, v1
	s_delay_alu instid0(VALU_DEP_2) | instskip(NEXT) | instid1(VALU_DEP_3)
	v_mov_b32_e32 v3, v4
	v_mov_b32_e32 v4, v5
	s_delay_alu instid0(VALU_DEP_3)
	v_mov_b32_e32 v5, v6
	v_mov_b32_e32 v6, v7
; %bb.20:                               ;   in Loop: Header=BB28_8 Depth=1
	s_and_not1_saveexec_b32 s14, s14
; %bb.21:                               ;   in Loop: Header=BB28_8 Depth=1
	s_delay_alu instid0(VALU_DEP_1)
	v_dual_mov_b32 v3, v5 :: v_dual_mov_b32 v4, v6
	v_dual_mov_b32 v5, v0 :: v_dual_mov_b32 v6, v1
; %bb.22:                               ;   in Loop: Header=BB28_8 Depth=1
	s_or_b32 exec_lo, exec_lo, s14
	s_and_not1_saveexec_b32 s13, s13
	s_cbranch_execz .LBB28_10
.LBB28_23:                              ;   in Loop: Header=BB28_8 Depth=1
	s_mov_b32 s14, exec_lo
	v_cmpx_eq_u32_e32 1, v14
; %bb.24:                               ;   in Loop: Header=BB28_8 Depth=1
	v_dual_mov_b32 v3, v4 :: v_dual_mov_b32 v4, v5
	v_dual_mov_b32 v5, v6 :: v_dual_mov_b32 v6, v0
; %bb.25:                               ;   in Loop: Header=BB28_8 Depth=1
	s_or_b32 exec_lo, exec_lo, s14
	s_delay_alu instid0(SALU_CYCLE_1) | instskip(NEXT) | instid1(SALU_CYCLE_1)
	s_or_b32 exec_lo, exec_lo, s13
	s_mov_b32 s13, exec_lo
	v_cmpx_gt_i64_e64 s[4:5], v[10:11]
	s_cbranch_execnz .LBB28_11
	s_branch .LBB28_12
.LBB28_26:
	s_endpgm
.LBB28_27:
                                        ; implicit-def: $sgpr2_sgpr3
	s_branch .LBB28_4
	.section	.rodata,"a",@progbits
	.p2align	6, 0x0
	.amdhsa_kernel _ZN2at6native12_GLOBAL__N_143distribution_elementwise_grid_stride_kernelIfLi4EZNS0_9templates4cuda21uniform_and_transformIN3c104HalfEfPNS_17CUDAGeneratorImplEZZZNS4_16geometric_kernelIS9_EEvRNS_18TensorIteratorBaseEdT_ENKUlvE_clEvENKUlvE6_clEvEUlfE_EEvSC_T1_T2_EUlP25hiprandStatePhilox4_32_10E_ZNS1_27distribution_nullary_kernelIS7_f15HIP_vector_typeIdLj2EES9_SL_SG_EEvSC_SI_RKT3_T4_EUlifE_EEvlNS_15PhiloxCudaStateESH_SI_
		.amdhsa_group_segment_fixed_size 0
		.amdhsa_private_segment_fixed_size 0
		.amdhsa_kernarg_size 328
		.amdhsa_user_sgpr_count 15
		.amdhsa_user_sgpr_dispatch_ptr 0
		.amdhsa_user_sgpr_queue_ptr 0
		.amdhsa_user_sgpr_kernarg_segment_ptr 1
		.amdhsa_user_sgpr_dispatch_id 0
		.amdhsa_user_sgpr_private_segment_size 0
		.amdhsa_wavefront_size32 1
		.amdhsa_uses_dynamic_stack 0
		.amdhsa_enable_private_segment 0
		.amdhsa_system_sgpr_workgroup_id_x 1
		.amdhsa_system_sgpr_workgroup_id_y 0
		.amdhsa_system_sgpr_workgroup_id_z 0
		.amdhsa_system_sgpr_workgroup_info 0
		.amdhsa_system_vgpr_workitem_id 0
		.amdhsa_next_free_vgpr 48
		.amdhsa_next_free_sgpr 23
		.amdhsa_reserve_vcc 1
		.amdhsa_float_round_mode_32 0
		.amdhsa_float_round_mode_16_64 0
		.amdhsa_float_denorm_mode_32 3
		.amdhsa_float_denorm_mode_16_64 3
		.amdhsa_dx10_clamp 1
		.amdhsa_ieee_mode 1
		.amdhsa_fp16_overflow 0
		.amdhsa_workgroup_processor_mode 1
		.amdhsa_memory_ordered 1
		.amdhsa_forward_progress 0
		.amdhsa_shared_vgpr_count 0
		.amdhsa_exception_fp_ieee_invalid_op 0
		.amdhsa_exception_fp_denorm_src 0
		.amdhsa_exception_fp_ieee_div_zero 0
		.amdhsa_exception_fp_ieee_overflow 0
		.amdhsa_exception_fp_ieee_underflow 0
		.amdhsa_exception_fp_ieee_inexact 0
		.amdhsa_exception_int_div_zero 0
	.end_amdhsa_kernel
	.section	.text._ZN2at6native12_GLOBAL__N_143distribution_elementwise_grid_stride_kernelIfLi4EZNS0_9templates4cuda21uniform_and_transformIN3c104HalfEfPNS_17CUDAGeneratorImplEZZZNS4_16geometric_kernelIS9_EEvRNS_18TensorIteratorBaseEdT_ENKUlvE_clEvENKUlvE6_clEvEUlfE_EEvSC_T1_T2_EUlP25hiprandStatePhilox4_32_10E_ZNS1_27distribution_nullary_kernelIS7_f15HIP_vector_typeIdLj2EES9_SL_SG_EEvSC_SI_RKT3_T4_EUlifE_EEvlNS_15PhiloxCudaStateESH_SI_,"axG",@progbits,_ZN2at6native12_GLOBAL__N_143distribution_elementwise_grid_stride_kernelIfLi4EZNS0_9templates4cuda21uniform_and_transformIN3c104HalfEfPNS_17CUDAGeneratorImplEZZZNS4_16geometric_kernelIS9_EEvRNS_18TensorIteratorBaseEdT_ENKUlvE_clEvENKUlvE6_clEvEUlfE_EEvSC_T1_T2_EUlP25hiprandStatePhilox4_32_10E_ZNS1_27distribution_nullary_kernelIS7_f15HIP_vector_typeIdLj2EES9_SL_SG_EEvSC_SI_RKT3_T4_EUlifE_EEvlNS_15PhiloxCudaStateESH_SI_,comdat
.Lfunc_end28:
	.size	_ZN2at6native12_GLOBAL__N_143distribution_elementwise_grid_stride_kernelIfLi4EZNS0_9templates4cuda21uniform_and_transformIN3c104HalfEfPNS_17CUDAGeneratorImplEZZZNS4_16geometric_kernelIS9_EEvRNS_18TensorIteratorBaseEdT_ENKUlvE_clEvENKUlvE6_clEvEUlfE_EEvSC_T1_T2_EUlP25hiprandStatePhilox4_32_10E_ZNS1_27distribution_nullary_kernelIS7_f15HIP_vector_typeIdLj2EES9_SL_SG_EEvSC_SI_RKT3_T4_EUlifE_EEvlNS_15PhiloxCudaStateESH_SI_, .Lfunc_end28-_ZN2at6native12_GLOBAL__N_143distribution_elementwise_grid_stride_kernelIfLi4EZNS0_9templates4cuda21uniform_and_transformIN3c104HalfEfPNS_17CUDAGeneratorImplEZZZNS4_16geometric_kernelIS9_EEvRNS_18TensorIteratorBaseEdT_ENKUlvE_clEvENKUlvE6_clEvEUlfE_EEvSC_T1_T2_EUlP25hiprandStatePhilox4_32_10E_ZNS1_27distribution_nullary_kernelIS7_f15HIP_vector_typeIdLj2EES9_SL_SG_EEvSC_SI_RKT3_T4_EUlifE_EEvlNS_15PhiloxCudaStateESH_SI_
                                        ; -- End function
	.section	.AMDGPU.csdata,"",@progbits
; Kernel info:
; codeLenInByte = 4180
; NumSgprs: 25
; NumVgprs: 48
; ScratchSize: 0
; MemoryBound: 0
; FloatMode: 240
; IeeeMode: 1
; LDSByteSize: 0 bytes/workgroup (compile time only)
; SGPRBlocks: 3
; VGPRBlocks: 5
; NumSGPRsForWavesPerEU: 25
; NumVGPRsForWavesPerEU: 48
; Occupancy: 16
; WaveLimiterHint : 0
; COMPUTE_PGM_RSRC2:SCRATCH_EN: 0
; COMPUTE_PGM_RSRC2:USER_SGPR: 15
; COMPUTE_PGM_RSRC2:TRAP_HANDLER: 0
; COMPUTE_PGM_RSRC2:TGID_X_EN: 1
; COMPUTE_PGM_RSRC2:TGID_Y_EN: 0
; COMPUTE_PGM_RSRC2:TGID_Z_EN: 0
; COMPUTE_PGM_RSRC2:TIDIG_COMP_CNT: 0
	.section	.text._ZN2at6native12_GLOBAL__N_143distribution_elementwise_grid_stride_kernelIfLi4EZNS0_9templates4cuda21uniform_and_transformIN3c104HalfEfPNS_17CUDAGeneratorImplEZZZNS4_16geometric_kernelIS9_EEvRNS_18TensorIteratorBaseEdT_ENKUlvE_clEvENKUlvE6_clEvEUlfE_EEvSC_T1_T2_EUlP25hiprandStatePhilox4_32_10E_ZNS1_27distribution_nullary_kernelIS7_f15HIP_vector_typeIdLj2EES9_SL_SG_EEvSC_SI_RKT3_T4_EUlifE0_EEvlNS_15PhiloxCudaStateESH_SI_,"axG",@progbits,_ZN2at6native12_GLOBAL__N_143distribution_elementwise_grid_stride_kernelIfLi4EZNS0_9templates4cuda21uniform_and_transformIN3c104HalfEfPNS_17CUDAGeneratorImplEZZZNS4_16geometric_kernelIS9_EEvRNS_18TensorIteratorBaseEdT_ENKUlvE_clEvENKUlvE6_clEvEUlfE_EEvSC_T1_T2_EUlP25hiprandStatePhilox4_32_10E_ZNS1_27distribution_nullary_kernelIS7_f15HIP_vector_typeIdLj2EES9_SL_SG_EEvSC_SI_RKT3_T4_EUlifE0_EEvlNS_15PhiloxCudaStateESH_SI_,comdat
	.globl	_ZN2at6native12_GLOBAL__N_143distribution_elementwise_grid_stride_kernelIfLi4EZNS0_9templates4cuda21uniform_and_transformIN3c104HalfEfPNS_17CUDAGeneratorImplEZZZNS4_16geometric_kernelIS9_EEvRNS_18TensorIteratorBaseEdT_ENKUlvE_clEvENKUlvE6_clEvEUlfE_EEvSC_T1_T2_EUlP25hiprandStatePhilox4_32_10E_ZNS1_27distribution_nullary_kernelIS7_f15HIP_vector_typeIdLj2EES9_SL_SG_EEvSC_SI_RKT3_T4_EUlifE0_EEvlNS_15PhiloxCudaStateESH_SI_ ; -- Begin function _ZN2at6native12_GLOBAL__N_143distribution_elementwise_grid_stride_kernelIfLi4EZNS0_9templates4cuda21uniform_and_transformIN3c104HalfEfPNS_17CUDAGeneratorImplEZZZNS4_16geometric_kernelIS9_EEvRNS_18TensorIteratorBaseEdT_ENKUlvE_clEvENKUlvE6_clEvEUlfE_EEvSC_T1_T2_EUlP25hiprandStatePhilox4_32_10E_ZNS1_27distribution_nullary_kernelIS7_f15HIP_vector_typeIdLj2EES9_SL_SG_EEvSC_SI_RKT3_T4_EUlifE0_EEvlNS_15PhiloxCudaStateESH_SI_
	.p2align	8
	.type	_ZN2at6native12_GLOBAL__N_143distribution_elementwise_grid_stride_kernelIfLi4EZNS0_9templates4cuda21uniform_and_transformIN3c104HalfEfPNS_17CUDAGeneratorImplEZZZNS4_16geometric_kernelIS9_EEvRNS_18TensorIteratorBaseEdT_ENKUlvE_clEvENKUlvE6_clEvEUlfE_EEvSC_T1_T2_EUlP25hiprandStatePhilox4_32_10E_ZNS1_27distribution_nullary_kernelIS7_f15HIP_vector_typeIdLj2EES9_SL_SG_EEvSC_SI_RKT3_T4_EUlifE0_EEvlNS_15PhiloxCudaStateESH_SI_,@function
_ZN2at6native12_GLOBAL__N_143distribution_elementwise_grid_stride_kernelIfLi4EZNS0_9templates4cuda21uniform_and_transformIN3c104HalfEfPNS_17CUDAGeneratorImplEZZZNS4_16geometric_kernelIS9_EEvRNS_18TensorIteratorBaseEdT_ENKUlvE_clEvENKUlvE6_clEvEUlfE_EEvSC_T1_T2_EUlP25hiprandStatePhilox4_32_10E_ZNS1_27distribution_nullary_kernelIS7_f15HIP_vector_typeIdLj2EES9_SL_SG_EEvSC_SI_RKT3_T4_EUlifE0_EEvlNS_15PhiloxCudaStateESH_SI_: ; @_ZN2at6native12_GLOBAL__N_143distribution_elementwise_grid_stride_kernelIfLi4EZNS0_9templates4cuda21uniform_and_transformIN3c104HalfEfPNS_17CUDAGeneratorImplEZZZNS4_16geometric_kernelIS9_EEvRNS_18TensorIteratorBaseEdT_ENKUlvE_clEvENKUlvE6_clEvEUlfE_EEvSC_T1_T2_EUlP25hiprandStatePhilox4_32_10E_ZNS1_27distribution_nullary_kernelIS7_f15HIP_vector_typeIdLj2EES9_SL_SG_EEvSC_SI_RKT3_T4_EUlifE0_EEvlNS_15PhiloxCudaStateESH_SI_
; %bb.0:
	s_clause 0x2
	s_load_b64 s[4:5], s[0:1], 0x10
	s_load_b128 s[16:19], s[0:1], 0x0
	s_load_b32 s2, s[0:1], 0x20
	s_waitcnt lgkmcnt(0)
	v_dual_mov_b32 v2, s4 :: v_dual_mov_b32 v3, s5
	v_dual_mov_b32 v8, s18 :: v_dual_mov_b32 v9, s19
	s_bitcmp0_b32 s2, 0
	s_mov_b32 s2, 0
	s_cbranch_scc1 .LBB29_2
; %bb.1:
	v_dual_mov_b32 v1, s4 :: v_dual_mov_b32 v2, s5
	v_dual_mov_b32 v4, s18 :: v_dual_mov_b32 v5, s19
	s_load_b64 s[4:5], s[0:1], 0x18
	flat_load_b64 v[2:3], v[1:2]
	flat_load_b64 v[8:9], v[4:5]
	s_waitcnt vmcnt(1) lgkmcnt(0)
	v_add_co_u32 v2, vcc_lo, v2, s4
	v_add_co_ci_u32_e32 v3, vcc_lo, s5, v3, vcc_lo
.LBB29_2:
	s_clause 0x1
	s_load_b32 s3, s[0:1], 0x154
	s_load_b32 s4, s[0:1], 0x148
	s_waitcnt lgkmcnt(0)
	s_and_b32 s5, s3, 0xffff
	s_add_u32 s6, s16, -1
	s_mul_i32 s24, s4, s5
	s_addc_u32 s3, s17, -1
	s_lshl_b32 s25, s24, 2
	s_cmp_lg_u64 s[2:3], 0
	s_cbranch_scc0 .LBB29_79
; %bb.3:
	v_cvt_f32_ubyte0_e32 v1, 0
	v_cvt_f32_u32_e32 v4, s25
	s_sub_u32 s8, 0, s25
	s_subb_u32 s9, 0, 0
	s_delay_alu instid0(VALU_DEP_1) | instskip(NEXT) | instid1(VALU_DEP_1)
	v_fmamk_f32 v1, v1, 0x4f800000, v4
	v_rcp_f32_e32 v1, v1
	s_waitcnt_depctr 0xfff
	v_mul_f32_e32 v1, 0x5f7ffffc, v1
	s_delay_alu instid0(VALU_DEP_1) | instskip(NEXT) | instid1(VALU_DEP_1)
	v_mul_f32_e32 v4, 0x2f800000, v1
	v_trunc_f32_e32 v4, v4
	s_delay_alu instid0(VALU_DEP_1) | instskip(SKIP_1) | instid1(VALU_DEP_2)
	v_fmamk_f32 v1, v4, 0xcf800000, v1
	v_cvt_u32_f32_e32 v4, v4
	v_cvt_u32_f32_e32 v1, v1
	s_delay_alu instid0(VALU_DEP_2) | instskip(NEXT) | instid1(VALU_DEP_2)
	v_readfirstlane_b32 s2, v4
	v_readfirstlane_b32 s7, v1
	s_delay_alu instid0(VALU_DEP_2) | instskip(NEXT) | instid1(VALU_DEP_1)
	s_mul_i32 s10, s8, s2
	s_mul_hi_u32 s12, s8, s7
	s_mul_i32 s11, s9, s7
	s_add_i32 s10, s12, s10
	s_mul_i32 s13, s8, s7
	s_add_i32 s10, s10, s11
	s_mul_hi_u32 s12, s7, s13
	s_mul_hi_u32 s14, s2, s13
	s_mul_i32 s11, s2, s13
	s_mul_hi_u32 s13, s7, s10
	s_mul_i32 s7, s7, s10
	s_mul_hi_u32 s18, s2, s10
	s_add_u32 s7, s12, s7
	s_addc_u32 s12, 0, s13
	s_add_u32 s7, s7, s11
	s_mul_i32 s10, s2, s10
	s_addc_u32 s7, s12, s14
	s_addc_u32 s11, s18, 0
	s_add_u32 s7, s7, s10
	s_addc_u32 s10, 0, s11
	v_add_co_u32 v1, s7, v1, s7
	s_delay_alu instid0(VALU_DEP_1) | instskip(SKIP_1) | instid1(VALU_DEP_1)
	s_cmp_lg_u32 s7, 0
	s_addc_u32 s2, s2, s10
	v_readfirstlane_b32 s7, v1
	s_mul_i32 s10, s8, s2
	s_delay_alu instid0(VALU_DEP_1)
	s_mul_hi_u32 s11, s8, s7
	s_mul_i32 s9, s9, s7
	s_add_i32 s10, s11, s10
	s_mul_i32 s8, s8, s7
	s_add_i32 s10, s10, s9
	s_mul_hi_u32 s11, s2, s8
	s_mul_i32 s12, s2, s8
	s_mul_hi_u32 s8, s7, s8
	s_mul_hi_u32 s13, s7, s10
	s_mul_i32 s7, s7, s10
	s_mul_hi_u32 s9, s2, s10
	s_add_u32 s7, s8, s7
	s_addc_u32 s8, 0, s13
	s_add_u32 s7, s7, s12
	s_mul_i32 s10, s2, s10
	s_addc_u32 s7, s8, s11
	s_addc_u32 s8, s9, 0
	s_add_u32 s7, s7, s10
	s_addc_u32 s8, 0, s8
	v_add_co_u32 v1, s7, v1, s7
	s_delay_alu instid0(VALU_DEP_1) | instskip(SKIP_2) | instid1(VALU_DEP_1)
	s_cmp_lg_u32 s7, 0
	s_addc_u32 s7, s2, s8
	s_ashr_i32 s8, s3, 31
	v_readfirstlane_b32 s10, v1
	s_add_u32 s2, s6, s8
	s_mov_b32 s9, s8
	s_addc_u32 s3, s3, s8
	s_delay_alu instid0(SALU_CYCLE_1) | instskip(NEXT) | instid1(SALU_CYCLE_1)
	s_xor_b64 s[2:3], s[2:3], s[8:9]
	s_mul_i32 s12, s2, s7
	s_mul_hi_u32 s13, s2, s10
	s_mul_hi_u32 s11, s2, s7
	;; [unrolled: 1-line block ×3, first 2 shown]
	s_mul_i32 s10, s3, s10
	s_add_u32 s12, s13, s12
	s_addc_u32 s11, 0, s11
	s_mul_hi_u32 s14, s3, s7
	s_add_u32 s10, s12, s10
	s_mul_i32 s7, s3, s7
	s_addc_u32 s10, s11, s18
	s_addc_u32 s11, s14, 0
	s_add_u32 s7, s10, s7
	s_addc_u32 s10, 0, s11
	s_mul_i32 s12, s25, s7
	s_add_u32 s11, s7, 1
	v_sub_co_u32 v1, s2, s2, s12
	s_mul_hi_u32 s12, s25, s7
	s_addc_u32 s13, s10, 0
	s_mul_i32 s14, s25, s10
	s_delay_alu instid0(VALU_DEP_1)
	v_sub_co_u32 v4, s18, v1, s25
	s_add_u32 s19, s7, 2
	s_addc_u32 s20, s10, 0
	s_add_i32 s12, s12, s14
	s_cmp_lg_u32 s2, 0
	v_readfirstlane_b32 s2, v4
	s_subb_u32 s3, s3, s12
	s_cmp_lg_u32 s18, 0
	s_subb_u32 s12, s3, 0
	s_delay_alu instid0(VALU_DEP_1) | instskip(SKIP_4) | instid1(SALU_CYCLE_1)
	s_cmp_ge_u32 s2, s25
	s_cselect_b32 s2, -1, 0
	s_cmp_eq_u32 s12, 0
	v_readfirstlane_b32 s12, v1
	s_cselect_b32 s2, s2, -1
	s_cmp_lg_u32 s2, 0
	s_cselect_b32 s2, s19, s11
	s_cselect_b32 s11, s20, s13
	s_cmp_ge_u32 s12, s25
	s_cselect_b32 s12, -1, 0
	s_cmp_eq_u32 s3, 0
	s_cselect_b32 s3, s12, -1
	s_delay_alu instid0(SALU_CYCLE_1) | instskip(SKIP_2) | instid1(SALU_CYCLE_1)
	s_cmp_lg_u32 s3, 0
	s_cselect_b32 s3, s11, s10
	s_cselect_b32 s2, s2, s7
	s_xor_b64 s[2:3], s[2:3], s[8:9]
	s_delay_alu instid0(SALU_CYCLE_1)
	s_sub_u32 s2, s2, s8
	s_subb_u32 s3, s3, s8
	s_cbranch_execnz .LBB29_5
.LBB29_4:
	v_cvt_f32_u32_e32 v1, s25
	s_sub_i32 s3, 0, s25
	s_delay_alu instid0(VALU_DEP_1) | instskip(SKIP_2) | instid1(VALU_DEP_1)
	v_rcp_iflag_f32_e32 v1, v1
	s_waitcnt_depctr 0xfff
	v_mul_f32_e32 v1, 0x4f7ffffe, v1
	v_cvt_u32_f32_e32 v1, v1
	s_delay_alu instid0(VALU_DEP_1) | instskip(NEXT) | instid1(VALU_DEP_1)
	v_readfirstlane_b32 s2, v1
	s_mul_i32 s3, s3, s2
	s_delay_alu instid0(SALU_CYCLE_1) | instskip(NEXT) | instid1(SALU_CYCLE_1)
	s_mul_hi_u32 s3, s2, s3
	s_add_i32 s2, s2, s3
	s_delay_alu instid0(SALU_CYCLE_1) | instskip(NEXT) | instid1(SALU_CYCLE_1)
	s_mul_hi_u32 s2, s6, s2
	s_mul_i32 s3, s2, s25
	s_delay_alu instid0(SALU_CYCLE_1)
	s_sub_i32 s3, s6, s3
	s_add_i32 s6, s2, 1
	s_sub_i32 s7, s3, s25
	s_cmp_ge_u32 s3, s25
	s_cselect_b32 s2, s6, s2
	s_cselect_b32 s3, s7, s3
	s_add_i32 s6, s2, 1
	s_cmp_ge_u32 s3, s25
	s_mov_b32 s3, 0
	s_cselect_b32 s2, s6, s2
.LBB29_5:
	v_mov_b32_e32 v1, 0
	s_add_u32 s2, s2, 1
	s_addc_u32 s3, s3, 0
	s_mul_hi_u32 s6, s24, s2
	s_mul_i32 s3, s24, s3
	v_mad_u64_u32 v[10:11], null, s5, s15, v[0:1]
	s_mul_hi_u32 s4, s4, s5
	s_add_i32 s3, s6, s3
	s_mul_i32 s4, s4, s2
	s_mul_i32 s2, s24, s2
	s_add_i32 s3, s3, s4
	s_mov_b32 s4, exec_lo
	s_lshl_b64 s[2:3], s[2:3], 2
	s_delay_alu instid0(SALU_CYCLE_1)
	v_cmpx_gt_i64_e64 s[2:3], v[10:11]
	s_cbranch_execz .LBB29_78
; %bb.6:
	s_load_b128 s[12:15], s[0:1], 0x138
	s_mov_b32 s4, 0x3e9b6dac
	v_alignbit_b32 v22, v3, v2, 2
	v_lshrrev_b32_e32 v23, 2, v3
	v_log_f32_e32 v34, s0
	s_waitcnt vmcnt(0)
	v_add_co_u32 v21, null, 0x9e3779b9, v8
	v_add_co_u32 v24, null, 0x3c6ef372, v8
	;; [unrolled: 1-line block ×7, first 2 shown]
	s_add_u32 s18, s0, 48
	s_waitcnt lgkmcnt(0)
	v_cvt_f32_f64_e32 v7, s[14:15]
	s_load_b64 s[14:15], s[0:1], 0xf4
	s_addc_u32 s19, s1, 0
	s_mov_b32 s26, 0
	s_mul_i32 s33, s24, 3
	s_delay_alu instid0(VALU_DEP_1) | instskip(NEXT) | instid1(VALU_DEP_1)
	v_sub_f32_e32 v4, 1.0, v7
	v_cvt_f64_f32_e32 v[0:1], v4
	s_delay_alu instid0(VALU_DEP_1) | instskip(SKIP_1) | instid1(VALU_DEP_1)
	v_frexp_exp_i32_f64_e32 v0, v[0:1]
	v_frexp_mant_f32_e32 v1, v4
	v_cmp_gt_f32_e32 vcc_lo, 0x3f2aaaab, v1
	v_add_f32_e32 v1, -1.0, v4
	s_delay_alu instid0(VALU_DEP_1) | instskip(NEXT) | instid1(VALU_DEP_1)
	v_sub_f32_e32 v6, v1, v4
	v_add_f32_e32 v6, 1.0, v6
	v_sub_f32_e64 v1, -v7, v1
	s_delay_alu instid0(VALU_DEP_1) | instskip(SKIP_2) | instid1(VALU_DEP_2)
	v_add_f32_e32 v1, v1, v6
	v_subrev_co_ci_u32_e32 v0, vcc_lo, 0, v0, vcc_lo
	v_cmp_eq_f32_e32 vcc_lo, 0xff800000, v7
	v_sub_nc_u32_e32 v5, 0, v0
	s_delay_alu instid0(VALU_DEP_1) | instskip(SKIP_1) | instid1(VALU_DEP_2)
	v_ldexp_f32 v4, v4, v5
	v_ldexp_f32 v1, v1, v5
	v_add_f32_e32 v5, -1.0, v4
	v_add_f32_e32 v12, 1.0, v4
	s_delay_alu instid0(VALU_DEP_1) | instskip(NEXT) | instid1(VALU_DEP_1)
	v_add_f32_e32 v6, -1.0, v12
	v_dual_sub_f32 v6, v4, v6 :: v_dual_add_f32 v13, 1.0, v5
	s_delay_alu instid0(VALU_DEP_1) | instskip(NEXT) | instid1(VALU_DEP_2)
	v_add_f32_e32 v6, v1, v6
	v_sub_f32_e32 v4, v4, v13
	s_delay_alu instid0(VALU_DEP_1) | instskip(NEXT) | instid1(VALU_DEP_1)
	v_add_f32_e32 v1, v1, v4
	v_add_f32_e32 v14, v5, v1
	s_delay_alu instid0(VALU_DEP_1) | instskip(SKIP_1) | instid1(VALU_DEP_1)
	v_sub_f32_e32 v5, v14, v5
	v_add_f32_e32 v13, v12, v6
	v_rcp_f32_e32 v4, v13
	v_sub_f32_e32 v12, v13, v12
	s_waitcnt_depctr 0xfff
	v_mul_f32_e32 v15, v14, v4
	v_sub_f32_e32 v6, v6, v12
	s_delay_alu instid0(VALU_DEP_2) | instskip(NEXT) | instid1(VALU_DEP_1)
	v_mul_f32_e32 v16, v13, v15
	v_fma_f32 v12, v15, v13, -v16
	s_delay_alu instid0(VALU_DEP_1) | instskip(NEXT) | instid1(VALU_DEP_1)
	v_dual_fmac_f32 v12, v15, v6 :: v_dual_sub_f32 v1, v1, v5
	v_add_f32_e32 v17, v16, v12
	s_delay_alu instid0(VALU_DEP_1) | instskip(NEXT) | instid1(VALU_DEP_1)
	v_dual_sub_f32 v5, v17, v16 :: v_dual_sub_f32 v18, v14, v17
	v_dual_sub_f32 v5, v5, v12 :: v_dual_sub_f32 v14, v14, v18
	s_delay_alu instid0(VALU_DEP_1) | instskip(NEXT) | instid1(VALU_DEP_1)
	v_sub_f32_e32 v14, v14, v17
	v_add_f32_e32 v1, v1, v14
	s_delay_alu instid0(VALU_DEP_1) | instskip(NEXT) | instid1(VALU_DEP_1)
	v_add_f32_e32 v1, v5, v1
	v_add_f32_e32 v5, v18, v1
	s_delay_alu instid0(VALU_DEP_1) | instskip(SKIP_2) | instid1(VALU_DEP_3)
	v_mul_f32_e32 v12, v4, v5
	v_sub_f32_e32 v17, v18, v5
	v_add_co_u32 v18, null, 0x5384540f, v8
	v_mul_f32_e32 v14, v13, v12
	s_delay_alu instid0(VALU_DEP_1) | instskip(NEXT) | instid1(VALU_DEP_1)
	v_fma_f32 v13, v12, v13, -v14
	v_fmac_f32_e32 v13, v12, v6
	s_delay_alu instid0(VALU_DEP_1) | instskip(SKIP_1) | instid1(VALU_DEP_2)
	v_add_f32_e32 v6, v14, v13
	v_add_f32_e32 v1, v1, v17
	v_sub_f32_e32 v16, v5, v6
	s_delay_alu instid0(VALU_DEP_1) | instskip(NEXT) | instid1(VALU_DEP_1)
	v_sub_f32_e32 v5, v5, v16
	v_sub_f32_e32 v5, v5, v6
	s_delay_alu instid0(VALU_DEP_1) | instskip(SKIP_1) | instid1(VALU_DEP_1)
	v_add_f32_e32 v1, v1, v5
	v_dual_add_f32 v5, v15, v12 :: v_dual_sub_f32 v14, v6, v14
	v_sub_f32_e32 v6, v14, v13
	s_delay_alu instid0(VALU_DEP_1) | instskip(NEXT) | instid1(VALU_DEP_3)
	v_dual_mov_b32 v14, v9 :: v_dual_add_f32 v1, v6, v1
	v_sub_f32_e32 v6, v5, v15
	s_delay_alu instid0(VALU_DEP_2) | instskip(SKIP_1) | instid1(VALU_DEP_4)
	v_add_co_u32 v37, null, 0xdb3d7428, v14
	v_and_b32_e32 v15, 3, v2
	v_add_f32_e32 v1, v16, v1
	s_delay_alu instid0(VALU_DEP_4) | instskip(NEXT) | instid1(VALU_DEP_2)
	v_sub_f32_e32 v6, v12, v6
	v_mul_f32_e32 v1, v4, v1
	s_delay_alu instid0(VALU_DEP_1) | instskip(NEXT) | instid1(VALU_DEP_1)
	v_add_f32_e32 v1, v6, v1
	v_add_f32_e32 v4, v5, v1
	s_delay_alu instid0(VALU_DEP_1) | instskip(NEXT) | instid1(VALU_DEP_1)
	v_mul_f32_e32 v6, v4, v4
	v_dual_mul_f32 v13, v4, v6 :: v_dual_add_nc_u32 v16, 0x8ff34781, v8
	v_fmaak_f32 v12, s4, v6, 0x3ecc95a3
	s_load_b256 s[4:11], s[0:1], 0x30
	s_waitcnt lgkmcnt(0)
	v_cmp_gt_f32_e64 s11, 0x33800000, |v7|
	s_delay_alu instid0(VALU_DEP_2) | instskip(SKIP_2) | instid1(VALU_DEP_3)
	v_fmaak_f32 v6, v6, v12, 0x3f2aaada
	v_add_nc_u32_e32 v17, 0x96a522ad, v9
	v_ldexp_f32 v12, v4, 1
	v_mul_f32_e32 v6, v13, v6
	v_cvt_f32_i32_e32 v13, v0
	v_sub_f32_e32 v0, v4, v5
	s_delay_alu instid0(VALU_DEP_2) | instskip(NEXT) | instid1(VALU_DEP_1)
	v_dual_add_f32 v5, v12, v6 :: v_dual_mul_f32 v28, 0x3f317218, v13
	v_sub_f32_e32 v4, v5, v12
	s_delay_alu instid0(VALU_DEP_2) | instskip(SKIP_1) | instid1(SALU_CYCLE_1)
	v_fma_f32 v3, 0x3f317218, v13, -v28
	s_add_i32 s20, s4, -1
	s_cmp_gt_u32 s20, 1
	s_delay_alu instid0(VALU_DEP_2) | instskip(NEXT) | instid1(VALU_DEP_2)
	v_sub_f32_e32 v4, v6, v4
	v_fmamk_f32 v6, v13, 0xb102e308, v3
	v_sub_f32_e32 v2, v1, v0
	v_mad_u64_u32 v[0:1], null, 0xcd9e8d57, v10, 0
	s_delay_alu instid0(VALU_DEP_3) | instskip(NEXT) | instid1(VALU_DEP_3)
	v_add_f32_e32 v13, v28, v6
	v_ldexp_f32 v2, v2, 1
	s_delay_alu instid0(VALU_DEP_3) | instskip(NEXT) | instid1(VALU_DEP_2)
	v_xor3_b32 v1, v8, v1, v23
	v_add_f32_e32 v12, v2, v4
	v_mad_u64_u32 v[2:3], null, 0xd2511f53, v22, 0
	v_sub_f32_e32 v32, v13, v28
	v_add_co_u32 v28, null, 0xbb67ae85, v14
	s_delay_alu instid0(VALU_DEP_4) | instskip(NEXT) | instid1(VALU_DEP_4)
	v_add_f32_e32 v29, v5, v12
	v_xor_b32_e32 v30, v3, v9
	v_mad_u64_u32 v[3:4], null, 0xd2511f53, v1, 0
	s_delay_alu instid0(VALU_DEP_3) | instskip(SKIP_1) | instid1(VALU_DEP_4)
	v_add_f32_e32 v31, v13, v29
	v_sub_f32_e32 v5, v29, v5
	v_xor_b32_e32 v30, v30, v11
	s_delay_alu instid0(VALU_DEP_3) | instskip(NEXT) | instid1(VALU_DEP_3)
	v_sub_f32_e32 v1, v31, v13
	v_sub_f32_e32 v12, v12, v5
	s_delay_alu instid0(VALU_DEP_2) | instskip(SKIP_3) | instid1(VALU_DEP_4)
	v_sub_f32_e32 v33, v31, v1
	v_sub_f32_e32 v5, v29, v1
	v_xor3_b32 v29, v28, v4, v2
	v_mad_u64_u32 v[1:2], null, 0xcd9e8d57, v30, 0
	v_sub_f32_e32 v13, v13, v33
	v_add_co_u32 v30, null, 0x76cf5d0a, v14
	s_delay_alu instid0(VALU_DEP_2) | instskip(SKIP_4) | instid1(VALU_DEP_2)
	v_add_f32_e32 v13, v5, v13
	v_mad_u64_u32 v[4:5], null, 0xcd9e8d57, v29, 0
	v_mov_b32_e32 v29, v10
	v_sub_f32_e32 v6, v6, v32
	v_xor3_b32 v2, v21, v2, v0
	v_add_f32_e32 v32, v6, v12
	v_xor3_b32 v35, v24, v5, v1
	s_delay_alu instid0(VALU_DEP_3) | instskip(NEXT) | instid1(VALU_DEP_3)
	v_mad_u64_u32 v[0:1], null, 0xd2511f53, v2, 0
	v_add_f32_e32 v13, v32, v13
	s_delay_alu instid0(VALU_DEP_1) | instskip(NEXT) | instid1(VALU_DEP_1)
	v_dual_sub_f32 v33, v32, v6 :: v_dual_add_f32 v36, v31, v13
	v_sub_f32_e32 v2, v12, v33
	v_sub_f32_e32 v5, v32, v33
	v_xor3_b32 v3, v30, v1, v3
	v_add_co_u32 v33, null, 0xa9066899, v14
	v_sub_f32_e32 v32, v36, v31
	s_delay_alu instid0(VALU_DEP_4) | instskip(SKIP_2) | instid1(VALU_DEP_3)
	v_sub_f32_e32 v12, v6, v5
	v_mad_u64_u32 v[5:6], null, 0xd2511f53, v35, 0
	v_add_co_u32 v31, null, 0x32370b8f, v14
	v_add_f32_e32 v2, v2, v12
	v_dual_sub_f32 v12, v13, v32 :: v_dual_mul_f32 v13, 0x3f317217, v34
	v_add_co_u32 v32, null, 0xed9eba14, v14
	s_delay_alu instid0(VALU_DEP_4) | instskip(NEXT) | instid1(VALU_DEP_3)
	v_xor3_b32 v6, v31, v6, v0
	v_add_f32_e32 v12, v2, v12
	v_mad_u64_u32 v[0:1], null, 0xcd9e8d57, v3, 0
	v_fma_f32 v35, 0x3f317217, v34, -v13
	s_delay_alu instid0(VALU_DEP_4) | instskip(NEXT) | instid1(VALU_DEP_4)
	v_mad_u64_u32 v[2:3], null, 0xcd9e8d57, v6, 0
	v_add_f32_e32 v6, v36, v12
	v_add_co_u32 v36, null, 0x1fd5c5a3, v14
	v_xor3_b32 v4, v20, v1, v4
	v_fmac_f32_e32 v35, 0x3377d1cf, v34
	s_delay_alu instid0(VALU_DEP_4) | instskip(SKIP_3) | instid1(VALU_DEP_4)
	v_cndmask_b32_e64 v6, v6, -v7, vcc_lo
	v_cmp_nlt_f32_e32 vcc_lo, 1.0, v7
	v_xor3_b32 v12, v25, v3, v0
	v_mad_u64_u32 v[0:1], null, 0xd2511f53, v4, 0
	v_dual_add_f32 v13, v13, v35 :: v_dual_cndmask_b32 v6, 0x7fc00000, v6
	v_cmp_neq_f32_e32 vcc_lo, 1.0, v7
	s_delay_alu instid0(VALU_DEP_4) | instskip(SKIP_1) | instid1(VALU_DEP_4)
	v_mad_u64_u32 v[3:4], null, 0xd2511f53, v12, 0
	v_add_co_u32 v35, null, 0x646e171e, v14
	v_cndmask_b32_e32 v6, 0xff800000, v6, vcc_lo
	v_cmp_gt_f32_e64 vcc_lo, 0x7f800000, |v34|
	v_xor3_b32 v1, v32, v1, v5
	v_xor3_b32 v4, v33, v4, v0
	v_cndmask_b32_e32 v40, v34, v13, vcc_lo
	v_cndmask_b32_e64 v34, v6, -v7, s11
	s_delay_alu instid0(VALU_DEP_4) | instskip(NEXT) | instid1(VALU_DEP_4)
	v_mad_u64_u32 v[5:6], null, 0xcd9e8d57, v1, 0
	v_mad_u64_u32 v[0:1], null, 0xcd9e8d57, v4, 0
	s_delay_alu instid0(VALU_DEP_3) | instskip(SKIP_1) | instid1(VALU_DEP_4)
	v_div_scale_f32 v41, null, v34, v34, v40
	v_div_scale_f32 v43, vcc_lo, v40, v34, v40
	v_xor3_b32 v2, v19, v6, v2
	s_delay_alu instid0(VALU_DEP_3) | instskip(NEXT) | instid1(VALU_DEP_4)
	v_rcp_f32_e32 v42, v41
	v_xor3_b32 v4, v26, v1, v5
	s_cselect_b32 s11, -1, 0
	s_cmp_lg_u32 s4, 0
	v_mad_u64_u32 v[6:7], null, 0xd2511f53, v2, 0
	s_delay_alu instid0(VALU_DEP_2)
	v_mad_u64_u32 v[1:2], null, 0xd2511f53, v4, 0
	s_cselect_b32 s27, -1, 0
	s_add_u32 s0, s0, 0xf4
	s_waitcnt_depctr 0xfff
	v_fma_f32 v5, -v41, v42, 1.0
	s_addc_u32 s1, s1, 0
	v_xor3_b32 v7, v35, v7, v3
	s_min_u32 s21, s20, 15
	v_xor3_b32 v2, v36, v2, v6
	v_fmac_f32_e32 v42, v5, v42
	s_cmp_gt_u32 s4, 1
	v_mad_u64_u32 v[3:4], null, 0xcd9e8d57, v7, 0
	s_delay_alu instid0(VALU_DEP_3) | instskip(NEXT) | instid1(VALU_DEP_3)
	v_mad_u64_u32 v[12:13], null, 0xcd9e8d57, v2, 0
	v_mul_f32_e32 v5, v43, v42
	s_cselect_b32 s4, -1, 0
	s_add_i32 s21, s21, 1
	s_lshl_b32 s28, s24, 1
	s_delay_alu instid0(VALU_DEP_3) | instskip(SKIP_1) | instid1(VALU_DEP_4)
	v_xor3_b32 v0, v18, v4, v0
	v_fma_f32 v4, -v41, v5, v43
	v_xor3_b32 v2, v27, v13, v3
	s_and_b32 s29, s21, 3
	s_cmp_lg_u32 s20, 2
	v_mad_u64_u32 v[38:39], null, 0xd2511f53, v0, 0
	v_fmac_f32_e32 v5, v4, v42
	s_cselect_b32 s30, -1, 0
	s_and_b32 s31, s21, 28
	s_cmp_lg_u32 s29, 0
	s_delay_alu instid0(VALU_DEP_1) | instskip(NEXT) | instid1(VALU_DEP_3)
	v_fma_f32 v0, -v41, v5, v43
	v_xor3_b32 v3, v37, v39, v1
	v_mov_b32_e32 v39, v11
	s_cselect_b32 s34, -1, 0
	s_delay_alu instid0(VALU_DEP_3) | instskip(SKIP_2) | instid1(VALU_DEP_3)
	v_div_fmas_f32 v6, v0, v42, v5
	v_mad_u64_u32 v[0:1], null, 0xd2511f53, v2, 0
	v_mad_u64_u32 v[4:5], null, 0xcd9e8d57, v3, 0
	v_div_fixup_f32 v2, v6, v34, v40
	s_delay_alu instid0(VALU_DEP_3) | instskip(NEXT) | instid1(VALU_DEP_2)
	v_mov_b32_e32 v6, v0
	v_ceil_f32_e32 v2, v2
	s_delay_alu instid0(VALU_DEP_4) | instskip(SKIP_1) | instid1(VALU_DEP_3)
	v_xor3_b32 v3, v5, v12, v16
	v_xor3_b32 v5, v1, v38, v17
	v_cvt_f16_f32_e32 v38, v2
	s_branch .LBB29_9
.LBB29_7:                               ;   in Loop: Header=BB29_9 Depth=1
	global_store_b16 v4, v38, s[12:13]
.LBB29_8:                               ;   in Loop: Header=BB29_9 Depth=1
	s_or_b32 exec_lo, exec_lo, s35
	v_add_co_u32 v10, vcc_lo, v10, s25
	v_add_co_ci_u32_e32 v11, vcc_lo, 0, v11, vcc_lo
	v_mov_b32_e32 v3, v12
	s_waitcnt_vscnt null, 0x0
	s_barrier
	s_delay_alu instid0(VALU_DEP_2)
	v_cmp_le_i64_e32 vcc_lo, s[2:3], v[10:11]
	buffer_gl0_inv
	v_mov_b32_e32 v6, v3
	v_dual_mov_b32 v5, v2 :: v_dual_mov_b32 v4, v1
	v_mov_b32_e32 v3, v0
	s_or_b32 s26, vcc_lo, s26
	s_delay_alu instid0(SALU_CYCLE_1)
	s_and_not1_b32 exec_lo, exec_lo, s26
	s_cbranch_execz .LBB29_78
.LBB29_9:                               ; =>This Loop Header: Depth=1
                                        ;     Child Loop BB29_24 Depth 2
                                        ;     Child Loop BB29_29 Depth 2
	;; [unrolled: 1-line block ×8, first 2 shown]
	v_add_co_u32 v22, vcc_lo, v22, 1
	s_delay_alu instid0(VALU_DEP_1) | instskip(SKIP_2) | instid1(VALU_DEP_1)
	v_cndmask_b32_e64 v0, 0, 1, vcc_lo
	v_add_co_ci_u32_e32 v23, vcc_lo, 0, v23, vcc_lo
	s_mov_b32 s20, exec_lo
	v_cmp_eq_u32_e32 vcc_lo, 0, v23
	s_delay_alu instid0(VALU_DEP_3) | instskip(NEXT) | instid1(VALU_DEP_1)
	v_cndmask_b32_e32 v0, 0, v0, vcc_lo
	v_add_nc_u32_e32 v29, v0, v29
	s_delay_alu instid0(VALU_DEP_1) | instskip(SKIP_2) | instid1(VALU_DEP_2)
	v_cmp_eq_u32_e32 vcc_lo, 0, v29
	v_cndmask_b32_e32 v0, 0, v0, vcc_lo
	v_mad_u64_u32 v[12:13], null, 0xcd9e8d57, v29, 0
	v_add_nc_u32_e32 v39, v0, v39
	v_mad_u64_u32 v[0:1], null, 0xd2511f53, v22, 0
	s_delay_alu instid0(VALU_DEP_3) | instskip(NEXT) | instid1(VALU_DEP_2)
	v_xor3_b32 v7, v13, v8, v23
	v_xor_b32_e32 v1, v1, v9
	s_delay_alu instid0(VALU_DEP_1) | instskip(NEXT) | instid1(VALU_DEP_3)
	v_xor_b32_e32 v40, v39, v1
	v_mad_u64_u32 v[1:2], null, 0xd2511f53, v7, 0
	s_delay_alu instid0(VALU_DEP_2) | instskip(NEXT) | instid1(VALU_DEP_2)
	v_mad_u64_u32 v[13:14], null, 0xcd9e8d57, v40, 0
	v_xor3_b32 v0, v28, v2, v0
	s_delay_alu instid0(VALU_DEP_2) | instskip(NEXT) | instid1(VALU_DEP_2)
	v_xor3_b32 v2, v21, v14, v12
	v_mad_u64_u32 v[40:41], null, 0xcd9e8d57, v0, 0
	s_delay_alu instid0(VALU_DEP_2) | instskip(NEXT) | instid1(VALU_DEP_2)
	v_mad_u64_u32 v[42:43], null, 0xd2511f53, v2, 0
	v_xor3_b32 v2, v24, v41, v13
	s_delay_alu instid0(VALU_DEP_2) | instskip(NEXT) | instid1(VALU_DEP_2)
	v_xor3_b32 v7, v30, v43, v1
	;; [unrolled: 6-line block ×9, first 2 shown]
	v_mov_b32_e32 v2, v7
	v_cmpx_lt_i32_e32 1, v15
	s_xor_b32 s20, exec_lo, s20
	s_cbranch_execnz .LBB29_12
; %bb.10:                               ;   in Loop: Header=BB29_9 Depth=1
	s_and_not1_saveexec_b32 s20, s20
	s_cbranch_execnz .LBB29_17
.LBB29_11:                              ;   in Loop: Header=BB29_9 Depth=1
	s_or_b32 exec_lo, exec_lo, s20
	s_delay_alu instid0(SALU_CYCLE_1)
	s_mov_b32 s35, exec_lo
	v_cmpx_gt_i64_e64 s[16:17], v[10:11]
	s_cbranch_execnz .LBB29_20
	s_branch .LBB29_34
.LBB29_12:                              ;   in Loop: Header=BB29_9 Depth=1
	s_mov_b32 s21, exec_lo
	v_cmpx_lt_i32_e32 2, v15
	s_xor_b32 s21, exec_lo, s21
; %bb.13:                               ;   in Loop: Header=BB29_9 Depth=1
	v_dual_mov_b32 v4, v6 :: v_dual_mov_b32 v5, v0
	v_mov_b32_e32 v6, v1
	s_delay_alu instid0(VALU_DEP_2) | instskip(NEXT) | instid1(VALU_DEP_3)
	v_mov_b32_e32 v3, v4
	v_mov_b32_e32 v4, v5
	s_delay_alu instid0(VALU_DEP_3)
	v_mov_b32_e32 v5, v6
	v_mov_b32_e32 v6, v7
; %bb.14:                               ;   in Loop: Header=BB29_9 Depth=1
	s_and_not1_saveexec_b32 s21, s21
; %bb.15:                               ;   in Loop: Header=BB29_9 Depth=1
	s_delay_alu instid0(VALU_DEP_1)
	v_dual_mov_b32 v3, v5 :: v_dual_mov_b32 v4, v6
	v_dual_mov_b32 v5, v0 :: v_dual_mov_b32 v6, v1
; %bb.16:                               ;   in Loop: Header=BB29_9 Depth=1
	s_or_b32 exec_lo, exec_lo, s21
	s_and_not1_saveexec_b32 s20, s20
	s_cbranch_execz .LBB29_11
.LBB29_17:                              ;   in Loop: Header=BB29_9 Depth=1
	s_mov_b32 s21, exec_lo
	v_cmpx_eq_u32_e32 1, v15
; %bb.18:                               ;   in Loop: Header=BB29_9 Depth=1
	v_dual_mov_b32 v3, v4 :: v_dual_mov_b32 v4, v5
	v_dual_mov_b32 v5, v6 :: v_dual_mov_b32 v6, v0
; %bb.19:                               ;   in Loop: Header=BB29_9 Depth=1
	s_or_b32 exec_lo, exec_lo, s21
	s_delay_alu instid0(SALU_CYCLE_1) | instskip(NEXT) | instid1(SALU_CYCLE_1)
	s_or_b32 exec_lo, exec_lo, s20
	s_mov_b32 s35, exec_lo
	v_cmpx_gt_i64_e64 s[16:17], v[10:11]
	s_cbranch_execz .LBB29_34
.LBB29_20:                              ;   in Loop: Header=BB29_9 Depth=1
	s_and_not1_b32 vcc_lo, exec_lo, s11
	s_cbranch_vccnz .LBB29_26
; %bb.21:                               ;   in Loop: Header=BB29_9 Depth=1
	v_mov_b32_e32 v7, 0
	s_and_not1_b32 vcc_lo, exec_lo, s27
	s_cbranch_vccnz .LBB29_30
; %bb.22:                               ;   in Loop: Header=BB29_9 Depth=1
	s_and_not1_b32 vcc_lo, exec_lo, s30
	s_mov_b32 s20, 0
	s_cbranch_vccnz .LBB29_27
; %bb.23:                               ;   in Loop: Header=BB29_9 Depth=1
	v_mov_b32_e32 v7, 0
	v_mov_b32_e32 v13, v10
	s_mov_b32 s36, 0
	s_mov_b64 s[20:21], s[18:19]
	s_mov_b64 s[22:23], s[0:1]
.LBB29_24:                              ;   Parent Loop BB29_9 Depth=1
                                        ; =>  This Inner Loop Header: Depth=2
	s_clause 0x1
	s_load_b256 s[40:47], s[20:21], 0x4
	s_load_b128 s[48:51], s[20:21], 0x24
	s_load_b128 s[52:55], s[22:23], 0x0
	s_add_u32 s20, s20, 48
	s_addc_u32 s21, s21, 0
	s_add_i32 s36, s36, 4
	s_add_u32 s22, s22, 16
	s_addc_u32 s23, s23, 0
	s_cmp_lg_u32 s31, s36
	s_waitcnt lgkmcnt(0)
	v_mul_hi_u32 v14, s41, v13
	s_delay_alu instid0(VALU_DEP_1) | instskip(NEXT) | instid1(VALU_DEP_1)
	v_add_nc_u32_e32 v14, v13, v14
	v_lshrrev_b32_e32 v14, s42, v14
	s_delay_alu instid0(VALU_DEP_1) | instskip(SKIP_1) | instid1(VALU_DEP_2)
	v_mul_hi_u32 v40, s44, v14
	v_mul_lo_u32 v43, v14, s40
	v_add_nc_u32_e32 v40, v14, v40
	s_delay_alu instid0(VALU_DEP_2) | instskip(NEXT) | instid1(VALU_DEP_2)
	v_sub_nc_u32_e32 v43, v13, v43
	v_lshrrev_b32_e32 v40, s45, v40
	s_delay_alu instid0(VALU_DEP_2) | instskip(NEXT) | instid1(VALU_DEP_2)
	v_mul_lo_u32 v43, v43, s52
	v_mul_hi_u32 v41, s47, v40
	v_mul_lo_u32 v44, v40, s43
	s_delay_alu instid0(VALU_DEP_2) | instskip(NEXT) | instid1(VALU_DEP_2)
	v_add_nc_u32_e32 v41, v40, v41
	v_sub_nc_u32_e32 v14, v14, v44
	s_delay_alu instid0(VALU_DEP_2) | instskip(NEXT) | instid1(VALU_DEP_2)
	v_lshrrev_b32_e32 v41, s48, v41
	v_mul_lo_u32 v14, v14, s53
	s_delay_alu instid0(VALU_DEP_2) | instskip(NEXT) | instid1(VALU_DEP_2)
	v_mul_hi_u32 v42, s50, v41
	v_add3_u32 v7, v43, v7, v14
	s_delay_alu instid0(VALU_DEP_2) | instskip(NEXT) | instid1(VALU_DEP_1)
	v_add_nc_u32_e32 v42, v41, v42
	v_lshrrev_b32_e32 v13, s51, v42
	v_mul_lo_u32 v42, v41, s46
	s_delay_alu instid0(VALU_DEP_2) | instskip(NEXT) | instid1(VALU_DEP_2)
	v_mul_lo_u32 v45, v13, s49
	v_sub_nc_u32_e32 v40, v40, v42
	s_delay_alu instid0(VALU_DEP_2) | instskip(NEXT) | instid1(VALU_DEP_2)
	v_sub_nc_u32_e32 v41, v41, v45
	v_mul_lo_u32 v40, v40, s54
	s_delay_alu instid0(VALU_DEP_2) | instskip(NEXT) | instid1(VALU_DEP_1)
	v_mul_lo_u32 v41, v41, s55
	v_add3_u32 v7, v40, v7, v41
	s_cbranch_scc1 .LBB29_24
; %bb.25:                               ;   in Loop: Header=BB29_9 Depth=1
	s_mov_b32 s20, s31
	s_and_not1_b32 vcc_lo, exec_lo, s34
	s_cbranch_vccz .LBB29_28
	s_branch .LBB29_30
.LBB29_26:                              ;   in Loop: Header=BB29_9 Depth=1
                                        ; implicit-def: $vgpr7
	s_branch .LBB29_31
.LBB29_27:                              ;   in Loop: Header=BB29_9 Depth=1
	v_mov_b32_e32 v13, v10
	s_and_not1_b32 vcc_lo, exec_lo, s34
	s_cbranch_vccnz .LBB29_30
.LBB29_28:                              ;   in Loop: Header=BB29_9 Depth=1
	s_lshl_b32 s21, s20, 2
	s_mul_i32 s22, s20, 12
	s_add_u32 s20, s0, s21
	s_addc_u32 s21, s1, 0
	s_add_u32 s22, s18, s22
	s_addc_u32 s23, s19, 0
	s_mov_b32 s36, s29
	.p2align	6
.LBB29_29:                              ;   Parent Loop BB29_9 Depth=1
                                        ; =>  This Inner Loop Header: Depth=2
	s_clause 0x1
	s_load_b64 s[38:39], s[22:23], 0x4
	s_load_b32 s37, s[22:23], 0xc
	s_add_u32 s22, s22, 12
	s_addc_u32 s23, s23, 0
	s_waitcnt lgkmcnt(0)
	v_mul_hi_u32 v14, s39, v13
	s_load_b32 s39, s[20:21], 0x0
	s_add_u32 s20, s20, 4
	s_addc_u32 s21, s21, 0
	s_add_i32 s36, s36, -1
	s_delay_alu instid0(SALU_CYCLE_1) | instskip(NEXT) | instid1(VALU_DEP_1)
	s_cmp_lg_u32 s36, 0
	v_add_nc_u32_e32 v14, v13, v14
	s_delay_alu instid0(VALU_DEP_1) | instskip(NEXT) | instid1(VALU_DEP_1)
	v_lshrrev_b32_e32 v14, s37, v14
	v_mul_lo_u32 v40, v14, s38
	s_delay_alu instid0(VALU_DEP_1) | instskip(SKIP_1) | instid1(VALU_DEP_1)
	v_sub_nc_u32_e32 v13, v13, v40
	s_waitcnt lgkmcnt(0)
	v_mad_u64_u32 v[40:41], null, v13, s39, v[7:8]
	v_mov_b32_e32 v13, v14
	s_delay_alu instid0(VALU_DEP_2)
	v_mov_b32_e32 v7, v40
	s_cbranch_scc1 .LBB29_29
.LBB29_30:                              ;   in Loop: Header=BB29_9 Depth=1
	s_cbranch_execnz .LBB29_33
.LBB29_31:                              ;   in Loop: Header=BB29_9 Depth=1
	v_mul_hi_u32 v7, v10, s6
	s_and_not1_b32 vcc_lo, exec_lo, s4
	s_delay_alu instid0(VALU_DEP_1) | instskip(NEXT) | instid1(VALU_DEP_1)
	v_add_nc_u32_e32 v7, v7, v10
	v_lshrrev_b32_e32 v13, s7, v7
	s_delay_alu instid0(VALU_DEP_1) | instskip(NEXT) | instid1(VALU_DEP_1)
	v_mul_lo_u32 v7, v13, s5
	v_sub_nc_u32_e32 v7, v10, v7
	s_delay_alu instid0(VALU_DEP_1)
	v_mul_lo_u32 v7, v7, s14
	s_cbranch_vccnz .LBB29_33
; %bb.32:                               ;   in Loop: Header=BB29_9 Depth=1
	v_mul_hi_u32 v14, s9, v13
	s_delay_alu instid0(VALU_DEP_1) | instskip(NEXT) | instid1(VALU_DEP_1)
	v_add_nc_u32_e32 v14, v13, v14
	v_lshrrev_b32_e32 v14, s10, v14
	s_delay_alu instid0(VALU_DEP_1) | instskip(NEXT) | instid1(VALU_DEP_1)
	v_mul_lo_u32 v14, v14, s8
	v_sub_nc_u32_e32 v40, v13, v14
	s_delay_alu instid0(VALU_DEP_1) | instskip(NEXT) | instid1(VALU_DEP_1)
	v_mad_u64_u32 v[13:14], null, v40, s15, v[7:8]
	v_mov_b32_e32 v7, v13
.LBB29_33:                              ;   in Loop: Header=BB29_9 Depth=1
	v_lshrrev_b32_e32 v4, 11, v4
	s_delay_alu instid0(VALU_DEP_1) | instskip(SKIP_1) | instid1(VALU_DEP_2)
	v_cvt_f64_u32_e32 v[13:14], v4
	v_cvt_f64_u32_e32 v[3:4], v3
	v_ldexp_f64 v[13:14], v[13:14], 32
	s_delay_alu instid0(VALU_DEP_1) | instskip(NEXT) | instid1(VALU_DEP_1)
	v_add_f64 v[3:4], v[13:14], v[3:4]
	v_fma_f64 v[3:4], 0x3ca00000, v[3:4], 0x3ca00000
	s_delay_alu instid0(VALU_DEP_1) | instskip(NEXT) | instid1(VALU_DEP_1)
	v_cvt_f32_f64_e32 v3, v[3:4]
	v_cmp_gt_f32_e32 vcc_lo, 0x800000, v3
	v_cndmask_b32_e64 v4, 1.0, 0x4f800000, vcc_lo
	s_delay_alu instid0(VALU_DEP_1) | instskip(NEXT) | instid1(VALU_DEP_1)
	v_mul_f32_e32 v3, v3, v4
	v_log_f32_e32 v3, v3
	s_waitcnt_depctr 0xfff
	v_mul_f32_e32 v4, 0x3f317217, v3
	s_delay_alu instid0(VALU_DEP_1) | instskip(NEXT) | instid1(VALU_DEP_1)
	v_fma_f32 v13, 0x3f317217, v3, -v4
	v_fmac_f32_e32 v13, 0x3377d1cf, v3
	s_delay_alu instid0(VALU_DEP_1) | instskip(SKIP_2) | instid1(VALU_DEP_3)
	v_add_f32_e32 v4, v4, v13
	v_cndmask_b32_e64 v13, 0, 0x41b17218, vcc_lo
	v_cmp_gt_f32_e64 vcc_lo, 0x7f800000, |v3|
	v_cndmask_b32_e32 v3, v3, v4, vcc_lo
	s_delay_alu instid0(VALU_DEP_1) | instskip(NEXT) | instid1(VALU_DEP_1)
	v_sub_f32_e32 v3, v3, v13
	v_div_scale_f32 v4, null, v34, v34, v3
	s_delay_alu instid0(VALU_DEP_1) | instskip(SKIP_2) | instid1(VALU_DEP_1)
	v_rcp_f32_e32 v13, v4
	s_waitcnt_depctr 0xfff
	v_fma_f32 v14, -v4, v13, 1.0
	v_fmac_f32_e32 v13, v14, v13
	v_div_scale_f32 v14, vcc_lo, v3, v34, v3
	s_delay_alu instid0(VALU_DEP_1) | instskip(NEXT) | instid1(VALU_DEP_1)
	v_mul_f32_e32 v40, v14, v13
	v_fma_f32 v41, -v4, v40, v14
	s_delay_alu instid0(VALU_DEP_1) | instskip(NEXT) | instid1(VALU_DEP_1)
	v_fmac_f32_e32 v40, v41, v13
	v_fma_f32 v4, -v4, v40, v14
	s_delay_alu instid0(VALU_DEP_1) | instskip(NEXT) | instid1(VALU_DEP_1)
	v_div_fmas_f32 v4, v4, v13, v40
	v_div_fixup_f32 v3, v4, v34, v3
	s_delay_alu instid0(VALU_DEP_1) | instskip(NEXT) | instid1(VALU_DEP_1)
	v_ceil_f32_e32 v3, v3
	v_cvt_f16_f32_e32 v3, v3
	global_store_b16 v7, v3, s[12:13]
.LBB29_34:                              ;   in Loop: Header=BB29_9 Depth=1
	s_or_b32 exec_lo, exec_lo, s35
	v_add_co_u32 v13, vcc_lo, v10, s24
	v_add_co_ci_u32_e32 v14, vcc_lo, 0, v11, vcc_lo
	s_mov_b32 s35, exec_lo
	s_delay_alu instid0(VALU_DEP_1)
	v_cmpx_gt_i64_e64 s[16:17], v[13:14]
	s_cbranch_execz .LBB29_49
; %bb.35:                               ;   in Loop: Header=BB29_9 Depth=1
	s_and_not1_b32 vcc_lo, exec_lo, s11
	s_cbranch_vccnz .LBB29_41
; %bb.36:                               ;   in Loop: Header=BB29_9 Depth=1
	v_mov_b32_e32 v3, 0
	s_and_not1_b32 vcc_lo, exec_lo, s27
	s_cbranch_vccnz .LBB29_45
; %bb.37:                               ;   in Loop: Header=BB29_9 Depth=1
	s_and_not1_b32 vcc_lo, exec_lo, s30
	s_mov_b32 s20, 0
	s_cbranch_vccnz .LBB29_42
; %bb.38:                               ;   in Loop: Header=BB29_9 Depth=1
	v_dual_mov_b32 v3, 0 :: v_dual_mov_b32 v4, v13
	s_mov_b32 s36, 0
	s_mov_b64 s[20:21], s[18:19]
	s_mov_b64 s[22:23], s[0:1]
.LBB29_39:                              ;   Parent Loop BB29_9 Depth=1
                                        ; =>  This Inner Loop Header: Depth=2
	s_clause 0x1
	s_load_b256 s[40:47], s[20:21], 0x4
	s_load_b128 s[48:51], s[20:21], 0x24
	s_load_b128 s[52:55], s[22:23], 0x0
	s_add_u32 s20, s20, 48
	s_addc_u32 s21, s21, 0
	s_add_i32 s36, s36, 4
	s_add_u32 s22, s22, 16
	s_addc_u32 s23, s23, 0
	s_cmp_eq_u32 s31, s36
	s_waitcnt lgkmcnt(0)
	v_mul_hi_u32 v7, s41, v4
	s_delay_alu instid0(VALU_DEP_1) | instskip(NEXT) | instid1(VALU_DEP_1)
	v_add_nc_u32_e32 v7, v4, v7
	v_lshrrev_b32_e32 v7, s42, v7
	s_delay_alu instid0(VALU_DEP_1) | instskip(SKIP_1) | instid1(VALU_DEP_2)
	v_mul_hi_u32 v14, s44, v7
	v_mul_lo_u32 v42, v7, s40
	v_add_nc_u32_e32 v14, v7, v14
	s_delay_alu instid0(VALU_DEP_2) | instskip(NEXT) | instid1(VALU_DEP_2)
	v_sub_nc_u32_e32 v42, v4, v42
	v_lshrrev_b32_e32 v14, s45, v14
	s_delay_alu instid0(VALU_DEP_2) | instskip(NEXT) | instid1(VALU_DEP_2)
	v_mul_lo_u32 v42, v42, s52
	v_mul_hi_u32 v40, s47, v14
	v_mul_lo_u32 v43, v14, s43
	s_delay_alu instid0(VALU_DEP_2) | instskip(NEXT) | instid1(VALU_DEP_2)
	v_add_nc_u32_e32 v40, v14, v40
	v_sub_nc_u32_e32 v7, v7, v43
	s_delay_alu instid0(VALU_DEP_2) | instskip(NEXT) | instid1(VALU_DEP_2)
	v_lshrrev_b32_e32 v40, s48, v40
	v_mul_lo_u32 v7, v7, s53
	s_delay_alu instid0(VALU_DEP_2) | instskip(NEXT) | instid1(VALU_DEP_2)
	v_mul_hi_u32 v41, s50, v40
	v_add3_u32 v3, v42, v3, v7
	s_delay_alu instid0(VALU_DEP_2) | instskip(NEXT) | instid1(VALU_DEP_1)
	v_add_nc_u32_e32 v41, v40, v41
	v_lshrrev_b32_e32 v4, s51, v41
	v_mul_lo_u32 v41, v40, s46
	s_delay_alu instid0(VALU_DEP_2) | instskip(NEXT) | instid1(VALU_DEP_2)
	v_mul_lo_u32 v44, v4, s49
	v_sub_nc_u32_e32 v14, v14, v41
	s_delay_alu instid0(VALU_DEP_2) | instskip(NEXT) | instid1(VALU_DEP_2)
	v_sub_nc_u32_e32 v40, v40, v44
	v_mul_lo_u32 v14, v14, s54
	s_delay_alu instid0(VALU_DEP_2) | instskip(NEXT) | instid1(VALU_DEP_1)
	v_mul_lo_u32 v40, v40, s55
	v_add3_u32 v3, v14, v3, v40
	s_cbranch_scc0 .LBB29_39
; %bb.40:                               ;   in Loop: Header=BB29_9 Depth=1
	s_mov_b32 s20, s31
	s_and_not1_b32 vcc_lo, exec_lo, s34
	s_cbranch_vccz .LBB29_43
	s_branch .LBB29_45
.LBB29_41:                              ;   in Loop: Header=BB29_9 Depth=1
                                        ; implicit-def: $vgpr3
	s_branch .LBB29_46
.LBB29_42:                              ;   in Loop: Header=BB29_9 Depth=1
	v_mov_b32_e32 v4, v13
	s_and_not1_b32 vcc_lo, exec_lo, s34
	s_cbranch_vccnz .LBB29_45
.LBB29_43:                              ;   in Loop: Header=BB29_9 Depth=1
	s_lshl_b32 s21, s20, 2
	s_mul_i32 s22, s20, 12
	s_add_u32 s20, s0, s21
	s_addc_u32 s21, s1, 0
	s_add_u32 s22, s18, s22
	s_addc_u32 s23, s19, 0
	s_mov_b32 s36, s29
	.p2align	6
.LBB29_44:                              ;   Parent Loop BB29_9 Depth=1
                                        ; =>  This Inner Loop Header: Depth=2
	s_clause 0x1
	s_load_b64 s[38:39], s[22:23], 0x4
	s_load_b32 s37, s[22:23], 0xc
	s_add_u32 s22, s22, 12
	s_addc_u32 s23, s23, 0
	s_waitcnt lgkmcnt(0)
	v_mul_hi_u32 v7, s39, v4
	s_load_b32 s39, s[20:21], 0x0
	s_add_u32 s20, s20, 4
	s_addc_u32 s21, s21, 0
	s_add_i32 s36, s36, -1
	s_delay_alu instid0(SALU_CYCLE_1) | instskip(NEXT) | instid1(VALU_DEP_1)
	s_cmp_lg_u32 s36, 0
	v_add_nc_u32_e32 v7, v4, v7
	s_delay_alu instid0(VALU_DEP_1) | instskip(NEXT) | instid1(VALU_DEP_1)
	v_lshrrev_b32_e32 v7, s37, v7
	v_mul_lo_u32 v14, v7, s38
	s_delay_alu instid0(VALU_DEP_1) | instskip(SKIP_1) | instid1(VALU_DEP_1)
	v_sub_nc_u32_e32 v4, v4, v14
	s_waitcnt lgkmcnt(0)
	v_mad_u64_u32 v[40:41], null, v4, s39, v[3:4]
	s_delay_alu instid0(VALU_DEP_1)
	v_dual_mov_b32 v4, v7 :: v_dual_mov_b32 v3, v40
	s_cbranch_scc1 .LBB29_44
.LBB29_45:                              ;   in Loop: Header=BB29_9 Depth=1
	s_cbranch_execnz .LBB29_48
.LBB29_46:                              ;   in Loop: Header=BB29_9 Depth=1
	v_mul_hi_u32 v3, v13, s6
	s_and_not1_b32 vcc_lo, exec_lo, s4
	s_delay_alu instid0(VALU_DEP_1) | instskip(NEXT) | instid1(VALU_DEP_1)
	v_add_nc_u32_e32 v3, v3, v13
	v_lshrrev_b32_e32 v4, s7, v3
	s_delay_alu instid0(VALU_DEP_1) | instskip(NEXT) | instid1(VALU_DEP_1)
	v_mul_lo_u32 v3, v4, s5
	v_sub_nc_u32_e32 v3, v13, v3
	s_delay_alu instid0(VALU_DEP_1)
	v_mul_lo_u32 v3, v3, s14
	s_cbranch_vccnz .LBB29_48
; %bb.47:                               ;   in Loop: Header=BB29_9 Depth=1
	v_mul_hi_u32 v7, s9, v4
	s_delay_alu instid0(VALU_DEP_1) | instskip(NEXT) | instid1(VALU_DEP_1)
	v_add_nc_u32_e32 v7, v4, v7
	v_lshrrev_b32_e32 v7, s10, v7
	s_delay_alu instid0(VALU_DEP_1) | instskip(NEXT) | instid1(VALU_DEP_1)
	v_mul_lo_u32 v7, v7, s8
	v_sub_nc_u32_e32 v4, v4, v7
	s_delay_alu instid0(VALU_DEP_1) | instskip(NEXT) | instid1(VALU_DEP_1)
	v_mad_u64_u32 v[13:14], null, v4, s15, v[3:4]
	v_mov_b32_e32 v3, v13
.LBB29_48:                              ;   in Loop: Header=BB29_9 Depth=1
	v_lshrrev_b32_e32 v4, 11, v6
	s_delay_alu instid0(VALU_DEP_1) | instskip(SKIP_1) | instid1(VALU_DEP_2)
	v_cvt_f64_u32_e32 v[6:7], v4
	v_cvt_f64_u32_e32 v[4:5], v5
	v_ldexp_f64 v[6:7], v[6:7], 32
	s_delay_alu instid0(VALU_DEP_1) | instskip(NEXT) | instid1(VALU_DEP_1)
	v_add_f64 v[4:5], v[6:7], v[4:5]
	v_fma_f64 v[4:5], 0x3ca00000, v[4:5], 0x3ca00000
	s_delay_alu instid0(VALU_DEP_1) | instskip(NEXT) | instid1(VALU_DEP_1)
	v_cvt_f32_f64_e32 v4, v[4:5]
	v_cmp_gt_f32_e32 vcc_lo, 0x800000, v4
	v_cndmask_b32_e64 v5, 1.0, 0x4f800000, vcc_lo
	s_delay_alu instid0(VALU_DEP_1) | instskip(NEXT) | instid1(VALU_DEP_1)
	v_mul_f32_e32 v4, v4, v5
	v_log_f32_e32 v4, v4
	s_waitcnt_depctr 0xfff
	v_mul_f32_e32 v5, 0x3f317217, v4
	s_delay_alu instid0(VALU_DEP_1) | instskip(NEXT) | instid1(VALU_DEP_1)
	v_fma_f32 v6, 0x3f317217, v4, -v5
	v_fmac_f32_e32 v6, 0x3377d1cf, v4
	s_delay_alu instid0(VALU_DEP_1) | instskip(SKIP_2) | instid1(VALU_DEP_3)
	v_add_f32_e32 v5, v5, v6
	v_cndmask_b32_e64 v6, 0, 0x41b17218, vcc_lo
	v_cmp_gt_f32_e64 vcc_lo, 0x7f800000, |v4|
	v_cndmask_b32_e32 v4, v4, v5, vcc_lo
	s_delay_alu instid0(VALU_DEP_1) | instskip(NEXT) | instid1(VALU_DEP_1)
	v_sub_f32_e32 v4, v4, v6
	v_div_scale_f32 v5, null, v34, v34, v4
	s_delay_alu instid0(VALU_DEP_1) | instskip(SKIP_2) | instid1(VALU_DEP_1)
	v_rcp_f32_e32 v6, v5
	s_waitcnt_depctr 0xfff
	v_fma_f32 v7, -v5, v6, 1.0
	v_fmac_f32_e32 v6, v7, v6
	v_div_scale_f32 v7, vcc_lo, v4, v34, v4
	s_delay_alu instid0(VALU_DEP_1) | instskip(NEXT) | instid1(VALU_DEP_1)
	v_mul_f32_e32 v13, v7, v6
	v_fma_f32 v14, -v5, v13, v7
	s_delay_alu instid0(VALU_DEP_1) | instskip(NEXT) | instid1(VALU_DEP_1)
	v_fmac_f32_e32 v13, v14, v6
	v_fma_f32 v5, -v5, v13, v7
	s_delay_alu instid0(VALU_DEP_1) | instskip(NEXT) | instid1(VALU_DEP_1)
	v_div_fmas_f32 v5, v5, v6, v13
	v_div_fixup_f32 v4, v5, v34, v4
	s_delay_alu instid0(VALU_DEP_1) | instskip(NEXT) | instid1(VALU_DEP_1)
	v_ceil_f32_e32 v4, v4
	v_cvt_f16_f32_e32 v4, v4
	global_store_b16 v3, v4, s[12:13]
.LBB29_49:                              ;   in Loop: Header=BB29_9 Depth=1
	s_or_b32 exec_lo, exec_lo, s35
	v_add_co_u32 v3, vcc_lo, v10, s28
	v_add_co_ci_u32_e32 v4, vcc_lo, 0, v11, vcc_lo
	s_mov_b32 s35, exec_lo
	s_delay_alu instid0(VALU_DEP_1)
	v_cmpx_gt_i64_e64 s[16:17], v[3:4]
	s_cbranch_execz .LBB29_64
; %bb.50:                               ;   in Loop: Header=BB29_9 Depth=1
	s_and_not1_b32 vcc_lo, exec_lo, s11
	s_cbranch_vccnz .LBB29_56
; %bb.51:                               ;   in Loop: Header=BB29_9 Depth=1
	v_mov_b32_e32 v4, 0
	s_and_not1_b32 vcc_lo, exec_lo, s27
	s_cbranch_vccnz .LBB29_60
; %bb.52:                               ;   in Loop: Header=BB29_9 Depth=1
	s_and_not1_b32 vcc_lo, exec_lo, s30
	s_mov_b32 s20, 0
	s_cbranch_vccnz .LBB29_57
; %bb.53:                               ;   in Loop: Header=BB29_9 Depth=1
	v_dual_mov_b32 v4, 0 :: v_dual_mov_b32 v5, v3
	s_mov_b32 s36, 0
	s_mov_b64 s[20:21], s[18:19]
	s_mov_b64 s[22:23], s[0:1]
.LBB29_54:                              ;   Parent Loop BB29_9 Depth=1
                                        ; =>  This Inner Loop Header: Depth=2
	s_clause 0x1
	s_load_b256 s[40:47], s[20:21], 0x4
	s_load_b128 s[48:51], s[20:21], 0x24
	s_load_b128 s[52:55], s[22:23], 0x0
	s_add_u32 s20, s20, 48
	s_addc_u32 s21, s21, 0
	s_add_i32 s36, s36, 4
	s_add_u32 s22, s22, 16
	s_addc_u32 s23, s23, 0
	s_cmp_eq_u32 s31, s36
	s_waitcnt lgkmcnt(0)
	v_mul_hi_u32 v6, s41, v5
	s_delay_alu instid0(VALU_DEP_1) | instskip(NEXT) | instid1(VALU_DEP_1)
	v_add_nc_u32_e32 v6, v5, v6
	v_lshrrev_b32_e32 v6, s42, v6
	s_delay_alu instid0(VALU_DEP_1) | instskip(SKIP_1) | instid1(VALU_DEP_2)
	v_mul_hi_u32 v7, s44, v6
	v_mul_lo_u32 v40, v6, s40
	v_add_nc_u32_e32 v7, v6, v7
	s_delay_alu instid0(VALU_DEP_2) | instskip(NEXT) | instid1(VALU_DEP_2)
	v_sub_nc_u32_e32 v40, v5, v40
	v_lshrrev_b32_e32 v7, s45, v7
	s_delay_alu instid0(VALU_DEP_2) | instskip(NEXT) | instid1(VALU_DEP_2)
	v_mul_lo_u32 v40, v40, s52
	v_mul_hi_u32 v13, s47, v7
	v_mul_lo_u32 v41, v7, s43
	s_delay_alu instid0(VALU_DEP_2) | instskip(NEXT) | instid1(VALU_DEP_2)
	v_add_nc_u32_e32 v13, v7, v13
	v_sub_nc_u32_e32 v6, v6, v41
	s_delay_alu instid0(VALU_DEP_2) | instskip(NEXT) | instid1(VALU_DEP_2)
	v_lshrrev_b32_e32 v13, s48, v13
	v_mul_lo_u32 v6, v6, s53
	s_delay_alu instid0(VALU_DEP_2) | instskip(NEXT) | instid1(VALU_DEP_2)
	v_mul_hi_u32 v14, s50, v13
	v_add3_u32 v4, v40, v4, v6
	s_delay_alu instid0(VALU_DEP_2) | instskip(NEXT) | instid1(VALU_DEP_1)
	v_add_nc_u32_e32 v14, v13, v14
	v_lshrrev_b32_e32 v5, s51, v14
	v_mul_lo_u32 v14, v13, s46
	s_delay_alu instid0(VALU_DEP_2) | instskip(NEXT) | instid1(VALU_DEP_2)
	v_mul_lo_u32 v42, v5, s49
	v_sub_nc_u32_e32 v7, v7, v14
	s_delay_alu instid0(VALU_DEP_2) | instskip(NEXT) | instid1(VALU_DEP_2)
	v_sub_nc_u32_e32 v13, v13, v42
	v_mul_lo_u32 v7, v7, s54
	s_delay_alu instid0(VALU_DEP_2) | instskip(NEXT) | instid1(VALU_DEP_1)
	v_mul_lo_u32 v13, v13, s55
	v_add3_u32 v4, v7, v4, v13
	s_cbranch_scc0 .LBB29_54
; %bb.55:                               ;   in Loop: Header=BB29_9 Depth=1
	s_mov_b32 s20, s31
	s_and_not1_b32 vcc_lo, exec_lo, s34
	s_cbranch_vccz .LBB29_58
	s_branch .LBB29_60
.LBB29_56:                              ;   in Loop: Header=BB29_9 Depth=1
                                        ; implicit-def: $vgpr4
	s_branch .LBB29_61
.LBB29_57:                              ;   in Loop: Header=BB29_9 Depth=1
	v_mov_b32_e32 v5, v3
	s_and_not1_b32 vcc_lo, exec_lo, s34
	s_cbranch_vccnz .LBB29_60
.LBB29_58:                              ;   in Loop: Header=BB29_9 Depth=1
	s_lshl_b32 s21, s20, 2
	s_mul_i32 s22, s20, 12
	s_add_u32 s20, s0, s21
	s_addc_u32 s21, s1, 0
	s_add_u32 s22, s18, s22
	s_addc_u32 s23, s19, 0
	s_mov_b32 s36, s29
	.p2align	6
.LBB29_59:                              ;   Parent Loop BB29_9 Depth=1
                                        ; =>  This Inner Loop Header: Depth=2
	s_clause 0x1
	s_load_b64 s[38:39], s[22:23], 0x4
	s_load_b32 s37, s[22:23], 0xc
	s_add_u32 s22, s22, 12
	s_addc_u32 s23, s23, 0
	s_waitcnt lgkmcnt(0)
	v_mul_hi_u32 v6, s39, v5
	s_load_b32 s39, s[20:21], 0x0
	s_add_u32 s20, s20, 4
	s_addc_u32 s21, s21, 0
	s_add_i32 s36, s36, -1
	s_delay_alu instid0(SALU_CYCLE_1) | instskip(NEXT) | instid1(VALU_DEP_1)
	s_cmp_lg_u32 s36, 0
	v_add_nc_u32_e32 v6, v5, v6
	s_delay_alu instid0(VALU_DEP_1) | instskip(NEXT) | instid1(VALU_DEP_1)
	v_lshrrev_b32_e32 v13, s37, v6
	v_mul_lo_u32 v6, v13, s38
	s_delay_alu instid0(VALU_DEP_1) | instskip(SKIP_1) | instid1(VALU_DEP_1)
	v_sub_nc_u32_e32 v5, v5, v6
	s_waitcnt lgkmcnt(0)
	v_mad_u64_u32 v[6:7], null, v5, s39, v[4:5]
	s_delay_alu instid0(VALU_DEP_1)
	v_dual_mov_b32 v5, v13 :: v_dual_mov_b32 v4, v6
	s_cbranch_scc1 .LBB29_59
.LBB29_60:                              ;   in Loop: Header=BB29_9 Depth=1
	s_cbranch_execnz .LBB29_63
.LBB29_61:                              ;   in Loop: Header=BB29_9 Depth=1
	v_mul_hi_u32 v4, v3, s6
	s_and_not1_b32 vcc_lo, exec_lo, s4
	s_delay_alu instid0(VALU_DEP_1) | instskip(NEXT) | instid1(VALU_DEP_1)
	v_add_nc_u32_e32 v4, v4, v3
	v_lshrrev_b32_e32 v5, s7, v4
	s_delay_alu instid0(VALU_DEP_1) | instskip(NEXT) | instid1(VALU_DEP_1)
	v_mul_lo_u32 v4, v5, s5
	v_sub_nc_u32_e32 v3, v3, v4
	s_delay_alu instid0(VALU_DEP_1)
	v_mul_lo_u32 v4, v3, s14
	s_cbranch_vccnz .LBB29_63
; %bb.62:                               ;   in Loop: Header=BB29_9 Depth=1
	v_mul_hi_u32 v3, s9, v5
	s_delay_alu instid0(VALU_DEP_1) | instskip(NEXT) | instid1(VALU_DEP_1)
	v_add_nc_u32_e32 v3, v5, v3
	v_lshrrev_b32_e32 v3, s10, v3
	s_delay_alu instid0(VALU_DEP_1) | instskip(NEXT) | instid1(VALU_DEP_1)
	v_mul_lo_u32 v3, v3, s8
	v_sub_nc_u32_e32 v3, v5, v3
	s_delay_alu instid0(VALU_DEP_1) | instskip(NEXT) | instid1(VALU_DEP_1)
	v_mad_u64_u32 v[5:6], null, v3, s15, v[4:5]
	v_mov_b32_e32 v4, v5
.LBB29_63:                              ;   in Loop: Header=BB29_9 Depth=1
	global_store_b16 v4, v38, s[12:13]
.LBB29_64:                              ;   in Loop: Header=BB29_9 Depth=1
	s_or_b32 exec_lo, exec_lo, s35
	v_add_co_u32 v3, vcc_lo, v10, s33
	v_add_co_ci_u32_e32 v4, vcc_lo, 0, v11, vcc_lo
	s_mov_b32 s35, exec_lo
	s_delay_alu instid0(VALU_DEP_1)
	v_cmpx_gt_i64_e64 s[16:17], v[3:4]
	s_cbranch_execz .LBB29_8
; %bb.65:                               ;   in Loop: Header=BB29_9 Depth=1
	s_and_not1_b32 vcc_lo, exec_lo, s11
	s_cbranch_vccnz .LBB29_71
; %bb.66:                               ;   in Loop: Header=BB29_9 Depth=1
	v_mov_b32_e32 v4, 0
	s_and_not1_b32 vcc_lo, exec_lo, s27
	s_cbranch_vccnz .LBB29_75
; %bb.67:                               ;   in Loop: Header=BB29_9 Depth=1
	s_and_not1_b32 vcc_lo, exec_lo, s30
	s_mov_b32 s20, 0
	s_cbranch_vccnz .LBB29_72
; %bb.68:                               ;   in Loop: Header=BB29_9 Depth=1
	v_dual_mov_b32 v4, 0 :: v_dual_mov_b32 v5, v3
	s_mov_b32 s36, 0
	s_mov_b64 s[20:21], s[18:19]
	s_mov_b64 s[22:23], s[0:1]
.LBB29_69:                              ;   Parent Loop BB29_9 Depth=1
                                        ; =>  This Inner Loop Header: Depth=2
	s_clause 0x1
	s_load_b256 s[40:47], s[20:21], 0x4
	s_load_b128 s[48:51], s[20:21], 0x24
	s_load_b128 s[52:55], s[22:23], 0x0
	s_add_u32 s20, s20, 48
	s_addc_u32 s21, s21, 0
	s_add_i32 s36, s36, 4
	s_add_u32 s22, s22, 16
	s_addc_u32 s23, s23, 0
	s_cmp_eq_u32 s31, s36
	s_waitcnt lgkmcnt(0)
	v_mul_hi_u32 v6, s41, v5
	s_delay_alu instid0(VALU_DEP_1) | instskip(NEXT) | instid1(VALU_DEP_1)
	v_add_nc_u32_e32 v6, v5, v6
	v_lshrrev_b32_e32 v6, s42, v6
	s_delay_alu instid0(VALU_DEP_1) | instskip(SKIP_1) | instid1(VALU_DEP_2)
	v_mul_hi_u32 v7, s44, v6
	v_mul_lo_u32 v40, v6, s40
	v_add_nc_u32_e32 v7, v6, v7
	s_delay_alu instid0(VALU_DEP_2) | instskip(NEXT) | instid1(VALU_DEP_2)
	v_sub_nc_u32_e32 v40, v5, v40
	v_lshrrev_b32_e32 v7, s45, v7
	s_delay_alu instid0(VALU_DEP_2) | instskip(NEXT) | instid1(VALU_DEP_2)
	v_mul_lo_u32 v40, v40, s52
	v_mul_hi_u32 v13, s47, v7
	v_mul_lo_u32 v41, v7, s43
	s_delay_alu instid0(VALU_DEP_2) | instskip(NEXT) | instid1(VALU_DEP_2)
	v_add_nc_u32_e32 v13, v7, v13
	v_sub_nc_u32_e32 v6, v6, v41
	s_delay_alu instid0(VALU_DEP_2) | instskip(NEXT) | instid1(VALU_DEP_2)
	v_lshrrev_b32_e32 v13, s48, v13
	v_mul_lo_u32 v6, v6, s53
	s_delay_alu instid0(VALU_DEP_2) | instskip(NEXT) | instid1(VALU_DEP_2)
	v_mul_hi_u32 v14, s50, v13
	v_add3_u32 v4, v40, v4, v6
	s_delay_alu instid0(VALU_DEP_2) | instskip(NEXT) | instid1(VALU_DEP_1)
	v_add_nc_u32_e32 v14, v13, v14
	v_lshrrev_b32_e32 v5, s51, v14
	v_mul_lo_u32 v14, v13, s46
	s_delay_alu instid0(VALU_DEP_2) | instskip(NEXT) | instid1(VALU_DEP_2)
	v_mul_lo_u32 v42, v5, s49
	v_sub_nc_u32_e32 v7, v7, v14
	s_delay_alu instid0(VALU_DEP_2) | instskip(NEXT) | instid1(VALU_DEP_2)
	v_sub_nc_u32_e32 v13, v13, v42
	v_mul_lo_u32 v7, v7, s54
	s_delay_alu instid0(VALU_DEP_2) | instskip(NEXT) | instid1(VALU_DEP_1)
	v_mul_lo_u32 v13, v13, s55
	v_add3_u32 v4, v7, v4, v13
	s_cbranch_scc0 .LBB29_69
; %bb.70:                               ;   in Loop: Header=BB29_9 Depth=1
	s_mov_b32 s20, s31
	s_and_not1_b32 vcc_lo, exec_lo, s34
	s_cbranch_vccz .LBB29_73
	s_branch .LBB29_75
.LBB29_71:                              ;   in Loop: Header=BB29_9 Depth=1
                                        ; implicit-def: $vgpr4
	s_branch .LBB29_76
.LBB29_72:                              ;   in Loop: Header=BB29_9 Depth=1
	v_mov_b32_e32 v5, v3
	s_and_not1_b32 vcc_lo, exec_lo, s34
	s_cbranch_vccnz .LBB29_75
.LBB29_73:                              ;   in Loop: Header=BB29_9 Depth=1
	s_lshl_b32 s21, s20, 2
	s_mul_i32 s22, s20, 12
	s_add_u32 s20, s0, s21
	s_addc_u32 s21, s1, 0
	s_add_u32 s22, s18, s22
	s_addc_u32 s23, s19, 0
	s_mov_b32 s36, s29
	.p2align	6
.LBB29_74:                              ;   Parent Loop BB29_9 Depth=1
                                        ; =>  This Inner Loop Header: Depth=2
	s_clause 0x1
	s_load_b64 s[38:39], s[22:23], 0x4
	s_load_b32 s37, s[22:23], 0xc
	s_add_u32 s22, s22, 12
	s_addc_u32 s23, s23, 0
	s_waitcnt lgkmcnt(0)
	v_mul_hi_u32 v6, s39, v5
	s_load_b32 s39, s[20:21], 0x0
	s_add_u32 s20, s20, 4
	s_addc_u32 s21, s21, 0
	s_add_i32 s36, s36, -1
	s_delay_alu instid0(SALU_CYCLE_1) | instskip(NEXT) | instid1(VALU_DEP_1)
	s_cmp_lg_u32 s36, 0
	v_add_nc_u32_e32 v6, v5, v6
	s_delay_alu instid0(VALU_DEP_1) | instskip(NEXT) | instid1(VALU_DEP_1)
	v_lshrrev_b32_e32 v13, s37, v6
	v_mul_lo_u32 v6, v13, s38
	s_delay_alu instid0(VALU_DEP_1) | instskip(SKIP_1) | instid1(VALU_DEP_1)
	v_sub_nc_u32_e32 v5, v5, v6
	s_waitcnt lgkmcnt(0)
	v_mad_u64_u32 v[6:7], null, v5, s39, v[4:5]
	s_delay_alu instid0(VALU_DEP_1)
	v_dual_mov_b32 v5, v13 :: v_dual_mov_b32 v4, v6
	s_cbranch_scc1 .LBB29_74
.LBB29_75:                              ;   in Loop: Header=BB29_9 Depth=1
	s_cbranch_execnz .LBB29_7
.LBB29_76:                              ;   in Loop: Header=BB29_9 Depth=1
	v_mul_hi_u32 v4, v3, s6
	s_and_not1_b32 vcc_lo, exec_lo, s4
	s_delay_alu instid0(VALU_DEP_1) | instskip(NEXT) | instid1(VALU_DEP_1)
	v_add_nc_u32_e32 v4, v4, v3
	v_lshrrev_b32_e32 v5, s7, v4
	s_delay_alu instid0(VALU_DEP_1) | instskip(NEXT) | instid1(VALU_DEP_1)
	v_mul_lo_u32 v4, v5, s5
	v_sub_nc_u32_e32 v3, v3, v4
	s_delay_alu instid0(VALU_DEP_1)
	v_mul_lo_u32 v4, v3, s14
	s_cbranch_vccnz .LBB29_7
; %bb.77:                               ;   in Loop: Header=BB29_9 Depth=1
	v_mul_hi_u32 v3, s9, v5
	s_delay_alu instid0(VALU_DEP_1) | instskip(NEXT) | instid1(VALU_DEP_1)
	v_add_nc_u32_e32 v3, v5, v3
	v_lshrrev_b32_e32 v3, s10, v3
	s_delay_alu instid0(VALU_DEP_1) | instskip(NEXT) | instid1(VALU_DEP_1)
	v_mul_lo_u32 v3, v3, s8
	v_sub_nc_u32_e32 v3, v5, v3
	s_delay_alu instid0(VALU_DEP_1) | instskip(NEXT) | instid1(VALU_DEP_1)
	v_mad_u64_u32 v[5:6], null, v3, s15, v[4:5]
	v_mov_b32_e32 v4, v5
	s_branch .LBB29_7
.LBB29_78:
	s_endpgm
.LBB29_79:
                                        ; implicit-def: $sgpr2_sgpr3
	s_branch .LBB29_4
	.section	.rodata,"a",@progbits
	.p2align	6, 0x0
	.amdhsa_kernel _ZN2at6native12_GLOBAL__N_143distribution_elementwise_grid_stride_kernelIfLi4EZNS0_9templates4cuda21uniform_and_transformIN3c104HalfEfPNS_17CUDAGeneratorImplEZZZNS4_16geometric_kernelIS9_EEvRNS_18TensorIteratorBaseEdT_ENKUlvE_clEvENKUlvE6_clEvEUlfE_EEvSC_T1_T2_EUlP25hiprandStatePhilox4_32_10E_ZNS1_27distribution_nullary_kernelIS7_f15HIP_vector_typeIdLj2EES9_SL_SG_EEvSC_SI_RKT3_T4_EUlifE0_EEvlNS_15PhiloxCudaStateESH_SI_
		.amdhsa_group_segment_fixed_size 0
		.amdhsa_private_segment_fixed_size 0
		.amdhsa_kernarg_size 584
		.amdhsa_user_sgpr_count 15
		.amdhsa_user_sgpr_dispatch_ptr 0
		.amdhsa_user_sgpr_queue_ptr 0
		.amdhsa_user_sgpr_kernarg_segment_ptr 1
		.amdhsa_user_sgpr_dispatch_id 0
		.amdhsa_user_sgpr_private_segment_size 0
		.amdhsa_wavefront_size32 1
		.amdhsa_uses_dynamic_stack 0
		.amdhsa_enable_private_segment 0
		.amdhsa_system_sgpr_workgroup_id_x 1
		.amdhsa_system_sgpr_workgroup_id_y 0
		.amdhsa_system_sgpr_workgroup_id_z 0
		.amdhsa_system_sgpr_workgroup_info 0
		.amdhsa_system_vgpr_workitem_id 0
		.amdhsa_next_free_vgpr 46
		.amdhsa_next_free_sgpr 56
		.amdhsa_reserve_vcc 1
		.amdhsa_float_round_mode_32 0
		.amdhsa_float_round_mode_16_64 0
		.amdhsa_float_denorm_mode_32 3
		.amdhsa_float_denorm_mode_16_64 3
		.amdhsa_dx10_clamp 1
		.amdhsa_ieee_mode 1
		.amdhsa_fp16_overflow 0
		.amdhsa_workgroup_processor_mode 1
		.amdhsa_memory_ordered 1
		.amdhsa_forward_progress 0
		.amdhsa_shared_vgpr_count 0
		.amdhsa_exception_fp_ieee_invalid_op 0
		.amdhsa_exception_fp_denorm_src 0
		.amdhsa_exception_fp_ieee_div_zero 0
		.amdhsa_exception_fp_ieee_overflow 0
		.amdhsa_exception_fp_ieee_underflow 0
		.amdhsa_exception_fp_ieee_inexact 0
		.amdhsa_exception_int_div_zero 0
	.end_amdhsa_kernel
	.section	.text._ZN2at6native12_GLOBAL__N_143distribution_elementwise_grid_stride_kernelIfLi4EZNS0_9templates4cuda21uniform_and_transformIN3c104HalfEfPNS_17CUDAGeneratorImplEZZZNS4_16geometric_kernelIS9_EEvRNS_18TensorIteratorBaseEdT_ENKUlvE_clEvENKUlvE6_clEvEUlfE_EEvSC_T1_T2_EUlP25hiprandStatePhilox4_32_10E_ZNS1_27distribution_nullary_kernelIS7_f15HIP_vector_typeIdLj2EES9_SL_SG_EEvSC_SI_RKT3_T4_EUlifE0_EEvlNS_15PhiloxCudaStateESH_SI_,"axG",@progbits,_ZN2at6native12_GLOBAL__N_143distribution_elementwise_grid_stride_kernelIfLi4EZNS0_9templates4cuda21uniform_and_transformIN3c104HalfEfPNS_17CUDAGeneratorImplEZZZNS4_16geometric_kernelIS9_EEvRNS_18TensorIteratorBaseEdT_ENKUlvE_clEvENKUlvE6_clEvEUlfE_EEvSC_T1_T2_EUlP25hiprandStatePhilox4_32_10E_ZNS1_27distribution_nullary_kernelIS7_f15HIP_vector_typeIdLj2EES9_SL_SG_EEvSC_SI_RKT3_T4_EUlifE0_EEvlNS_15PhiloxCudaStateESH_SI_,comdat
.Lfunc_end29:
	.size	_ZN2at6native12_GLOBAL__N_143distribution_elementwise_grid_stride_kernelIfLi4EZNS0_9templates4cuda21uniform_and_transformIN3c104HalfEfPNS_17CUDAGeneratorImplEZZZNS4_16geometric_kernelIS9_EEvRNS_18TensorIteratorBaseEdT_ENKUlvE_clEvENKUlvE6_clEvEUlfE_EEvSC_T1_T2_EUlP25hiprandStatePhilox4_32_10E_ZNS1_27distribution_nullary_kernelIS7_f15HIP_vector_typeIdLj2EES9_SL_SG_EEvSC_SI_RKT3_T4_EUlifE0_EEvlNS_15PhiloxCudaStateESH_SI_, .Lfunc_end29-_ZN2at6native12_GLOBAL__N_143distribution_elementwise_grid_stride_kernelIfLi4EZNS0_9templates4cuda21uniform_and_transformIN3c104HalfEfPNS_17CUDAGeneratorImplEZZZNS4_16geometric_kernelIS9_EEvRNS_18TensorIteratorBaseEdT_ENKUlvE_clEvENKUlvE6_clEvEUlfE_EEvSC_T1_T2_EUlP25hiprandStatePhilox4_32_10E_ZNS1_27distribution_nullary_kernelIS7_f15HIP_vector_typeIdLj2EES9_SL_SG_EEvSC_SI_RKT3_T4_EUlifE0_EEvlNS_15PhiloxCudaStateESH_SI_
                                        ; -- End function
	.section	.AMDGPU.csdata,"",@progbits
; Kernel info:
; codeLenInByte = 6516
; NumSgprs: 58
; NumVgprs: 46
; ScratchSize: 0
; MemoryBound: 0
; FloatMode: 240
; IeeeMode: 1
; LDSByteSize: 0 bytes/workgroup (compile time only)
; SGPRBlocks: 7
; VGPRBlocks: 5
; NumSGPRsForWavesPerEU: 58
; NumVGPRsForWavesPerEU: 46
; Occupancy: 16
; WaveLimiterHint : 1
; COMPUTE_PGM_RSRC2:SCRATCH_EN: 0
; COMPUTE_PGM_RSRC2:USER_SGPR: 15
; COMPUTE_PGM_RSRC2:TRAP_HANDLER: 0
; COMPUTE_PGM_RSRC2:TGID_X_EN: 1
; COMPUTE_PGM_RSRC2:TGID_Y_EN: 0
; COMPUTE_PGM_RSRC2:TGID_Z_EN: 0
; COMPUTE_PGM_RSRC2:TIDIG_COMP_CNT: 0
	.section	.text._ZN2at6native12_GLOBAL__N_143distribution_elementwise_grid_stride_kernelIfLi4EZNS0_9templates4cuda21uniform_and_transformIN3c104HalfEfPNS_17CUDAGeneratorImplEZZZNS4_16geometric_kernelIS9_EEvRNS_18TensorIteratorBaseEdT_ENKUlvE_clEvENKUlvE6_clEvEUlfE_EEvSC_T1_T2_EUlP25hiprandStatePhilox4_32_10E0_ZNS1_27distribution_nullary_kernelIS7_f15HIP_vector_typeIfLj4EES9_SL_SG_EEvSC_SI_RKT3_T4_EUlifE_EEvlNS_15PhiloxCudaStateESH_SI_,"axG",@progbits,_ZN2at6native12_GLOBAL__N_143distribution_elementwise_grid_stride_kernelIfLi4EZNS0_9templates4cuda21uniform_and_transformIN3c104HalfEfPNS_17CUDAGeneratorImplEZZZNS4_16geometric_kernelIS9_EEvRNS_18TensorIteratorBaseEdT_ENKUlvE_clEvENKUlvE6_clEvEUlfE_EEvSC_T1_T2_EUlP25hiprandStatePhilox4_32_10E0_ZNS1_27distribution_nullary_kernelIS7_f15HIP_vector_typeIfLj4EES9_SL_SG_EEvSC_SI_RKT3_T4_EUlifE_EEvlNS_15PhiloxCudaStateESH_SI_,comdat
	.globl	_ZN2at6native12_GLOBAL__N_143distribution_elementwise_grid_stride_kernelIfLi4EZNS0_9templates4cuda21uniform_and_transformIN3c104HalfEfPNS_17CUDAGeneratorImplEZZZNS4_16geometric_kernelIS9_EEvRNS_18TensorIteratorBaseEdT_ENKUlvE_clEvENKUlvE6_clEvEUlfE_EEvSC_T1_T2_EUlP25hiprandStatePhilox4_32_10E0_ZNS1_27distribution_nullary_kernelIS7_f15HIP_vector_typeIfLj4EES9_SL_SG_EEvSC_SI_RKT3_T4_EUlifE_EEvlNS_15PhiloxCudaStateESH_SI_ ; -- Begin function _ZN2at6native12_GLOBAL__N_143distribution_elementwise_grid_stride_kernelIfLi4EZNS0_9templates4cuda21uniform_and_transformIN3c104HalfEfPNS_17CUDAGeneratorImplEZZZNS4_16geometric_kernelIS9_EEvRNS_18TensorIteratorBaseEdT_ENKUlvE_clEvENKUlvE6_clEvEUlfE_EEvSC_T1_T2_EUlP25hiprandStatePhilox4_32_10E0_ZNS1_27distribution_nullary_kernelIS7_f15HIP_vector_typeIfLj4EES9_SL_SG_EEvSC_SI_RKT3_T4_EUlifE_EEvlNS_15PhiloxCudaStateESH_SI_
	.p2align	8
	.type	_ZN2at6native12_GLOBAL__N_143distribution_elementwise_grid_stride_kernelIfLi4EZNS0_9templates4cuda21uniform_and_transformIN3c104HalfEfPNS_17CUDAGeneratorImplEZZZNS4_16geometric_kernelIS9_EEvRNS_18TensorIteratorBaseEdT_ENKUlvE_clEvENKUlvE6_clEvEUlfE_EEvSC_T1_T2_EUlP25hiprandStatePhilox4_32_10E0_ZNS1_27distribution_nullary_kernelIS7_f15HIP_vector_typeIfLj4EES9_SL_SG_EEvSC_SI_RKT3_T4_EUlifE_EEvlNS_15PhiloxCudaStateESH_SI_,@function
_ZN2at6native12_GLOBAL__N_143distribution_elementwise_grid_stride_kernelIfLi4EZNS0_9templates4cuda21uniform_and_transformIN3c104HalfEfPNS_17CUDAGeneratorImplEZZZNS4_16geometric_kernelIS9_EEvRNS_18TensorIteratorBaseEdT_ENKUlvE_clEvENKUlvE6_clEvEUlfE_EEvSC_T1_T2_EUlP25hiprandStatePhilox4_32_10E0_ZNS1_27distribution_nullary_kernelIS7_f15HIP_vector_typeIfLj4EES9_SL_SG_EEvSC_SI_RKT3_T4_EUlifE_EEvlNS_15PhiloxCudaStateESH_SI_: ; @_ZN2at6native12_GLOBAL__N_143distribution_elementwise_grid_stride_kernelIfLi4EZNS0_9templates4cuda21uniform_and_transformIN3c104HalfEfPNS_17CUDAGeneratorImplEZZZNS4_16geometric_kernelIS9_EEvRNS_18TensorIteratorBaseEdT_ENKUlvE_clEvENKUlvE6_clEvEUlfE_EEvSC_T1_T2_EUlP25hiprandStatePhilox4_32_10E0_ZNS1_27distribution_nullary_kernelIS7_f15HIP_vector_typeIfLj4EES9_SL_SG_EEvSC_SI_RKT3_T4_EUlifE_EEvlNS_15PhiloxCudaStateESH_SI_
; %bb.0:
	s_clause 0x2
	s_load_b64 s[8:9], s[0:1], 0x10
	s_load_b128 s[4:7], s[0:1], 0x0
	s_load_b32 s2, s[0:1], 0x20
	s_waitcnt lgkmcnt(0)
	v_dual_mov_b32 v2, s8 :: v_dual_mov_b32 v3, s9
	v_dual_mov_b32 v12, s7 :: v_dual_mov_b32 v11, s6
	s_bitcmp0_b32 s2, 0
	s_mov_b32 s2, 0
	s_cbranch_scc1 .LBB30_2
; %bb.1:
	v_dual_mov_b32 v1, s8 :: v_dual_mov_b32 v2, s9
	v_dual_mov_b32 v4, s6 :: v_dual_mov_b32 v5, s7
	s_load_b64 s[6:7], s[0:1], 0x18
	flat_load_b64 v[2:3], v[1:2]
	flat_load_b64 v[11:12], v[4:5]
	s_waitcnt vmcnt(1) lgkmcnt(0)
	v_add_co_u32 v2, vcc_lo, v2, s6
	v_add_co_ci_u32_e32 v3, vcc_lo, s7, v3, vcc_lo
.LBB30_2:
	s_clause 0x1
	s_load_b32 s3, s[0:1], 0x54
	s_load_b32 s11, s[0:1], 0x48
	s_waitcnt lgkmcnt(0)
	s_and_b32 s10, s3, 0xffff
	s_add_u32 s6, s4, -1
	s_mul_i32 s8, s11, s10
	s_addc_u32 s3, s5, -1
	s_lshl_b32 s9, s8, 2
	s_cmp_lg_u64 s[2:3], 0
	s_cbranch_scc0 .LBB30_27
; %bb.3:
	v_cvt_f32_ubyte0_e32 v1, 0
	v_cvt_f32_u32_e32 v4, s9
	s_sub_u32 s12, 0, s9
	s_subb_u32 s13, 0, 0
	s_delay_alu instid0(VALU_DEP_1) | instskip(NEXT) | instid1(VALU_DEP_1)
	v_fmamk_f32 v1, v1, 0x4f800000, v4
	v_rcp_f32_e32 v1, v1
	s_waitcnt_depctr 0xfff
	v_mul_f32_e32 v1, 0x5f7ffffc, v1
	s_delay_alu instid0(VALU_DEP_1) | instskip(NEXT) | instid1(VALU_DEP_1)
	v_mul_f32_e32 v4, 0x2f800000, v1
	v_trunc_f32_e32 v4, v4
	s_delay_alu instid0(VALU_DEP_1) | instskip(SKIP_1) | instid1(VALU_DEP_2)
	v_fmamk_f32 v1, v4, 0xcf800000, v1
	v_cvt_u32_f32_e32 v4, v4
	v_cvt_u32_f32_e32 v1, v1
	s_delay_alu instid0(VALU_DEP_2) | instskip(NEXT) | instid1(VALU_DEP_2)
	v_readfirstlane_b32 s2, v4
	v_readfirstlane_b32 s7, v1
	s_delay_alu instid0(VALU_DEP_2) | instskip(NEXT) | instid1(VALU_DEP_1)
	s_mul_i32 s14, s12, s2
	s_mul_hi_u32 s17, s12, s7
	s_mul_i32 s16, s13, s7
	s_add_i32 s14, s17, s14
	s_mul_i32 s18, s12, s7
	s_add_i32 s14, s14, s16
	s_mul_hi_u32 s17, s7, s18
	s_mul_hi_u32 s19, s2, s18
	s_mul_i32 s16, s2, s18
	s_mul_hi_u32 s18, s7, s14
	s_mul_i32 s7, s7, s14
	s_mul_hi_u32 s20, s2, s14
	s_add_u32 s7, s17, s7
	s_addc_u32 s17, 0, s18
	s_add_u32 s7, s7, s16
	s_mul_i32 s14, s2, s14
	s_addc_u32 s7, s17, s19
	s_addc_u32 s16, s20, 0
	s_add_u32 s7, s7, s14
	s_addc_u32 s14, 0, s16
	v_add_co_u32 v1, s7, v1, s7
	s_delay_alu instid0(VALU_DEP_1) | instskip(SKIP_1) | instid1(VALU_DEP_1)
	s_cmp_lg_u32 s7, 0
	s_addc_u32 s2, s2, s14
	v_readfirstlane_b32 s7, v1
	s_mul_i32 s14, s12, s2
	s_delay_alu instid0(VALU_DEP_1)
	s_mul_hi_u32 s16, s12, s7
	s_mul_i32 s13, s13, s7
	s_add_i32 s14, s16, s14
	s_mul_i32 s12, s12, s7
	s_add_i32 s14, s14, s13
	s_mul_hi_u32 s16, s2, s12
	s_mul_i32 s17, s2, s12
	s_mul_hi_u32 s12, s7, s12
	s_mul_hi_u32 s18, s7, s14
	s_mul_i32 s7, s7, s14
	s_mul_hi_u32 s13, s2, s14
	s_add_u32 s7, s12, s7
	s_addc_u32 s12, 0, s18
	s_add_u32 s7, s7, s17
	s_mul_i32 s14, s2, s14
	s_addc_u32 s7, s12, s16
	s_addc_u32 s12, s13, 0
	s_add_u32 s7, s7, s14
	s_addc_u32 s12, 0, s12
	v_add_co_u32 v1, s7, v1, s7
	s_delay_alu instid0(VALU_DEP_1) | instskip(SKIP_2) | instid1(VALU_DEP_1)
	s_cmp_lg_u32 s7, 0
	s_addc_u32 s7, s2, s12
	s_ashr_i32 s12, s3, 31
	v_readfirstlane_b32 s14, v1
	s_add_u32 s2, s6, s12
	s_mov_b32 s13, s12
	s_addc_u32 s3, s3, s12
	s_delay_alu instid0(SALU_CYCLE_1) | instskip(NEXT) | instid1(SALU_CYCLE_1)
	s_xor_b64 s[2:3], s[2:3], s[12:13]
	s_mul_i32 s17, s2, s7
	s_mul_hi_u32 s18, s2, s14
	s_mul_hi_u32 s16, s2, s7
	;; [unrolled: 1-line block ×3, first 2 shown]
	s_mul_i32 s14, s3, s14
	s_add_u32 s17, s18, s17
	s_addc_u32 s16, 0, s16
	s_mul_hi_u32 s19, s3, s7
	s_add_u32 s14, s17, s14
	s_mul_i32 s7, s3, s7
	s_addc_u32 s14, s16, s20
	s_addc_u32 s16, s19, 0
	s_add_u32 s7, s14, s7
	s_addc_u32 s14, 0, s16
	s_mul_i32 s17, s9, s7
	s_add_u32 s16, s7, 1
	v_sub_co_u32 v1, s2, s2, s17
	s_mul_hi_u32 s17, s9, s7
	s_addc_u32 s18, s14, 0
	s_mul_i32 s19, s9, s14
	s_delay_alu instid0(VALU_DEP_1)
	v_sub_co_u32 v4, s20, v1, s9
	s_add_u32 s21, s7, 2
	s_addc_u32 s22, s14, 0
	s_add_i32 s17, s17, s19
	s_cmp_lg_u32 s2, 0
	v_readfirstlane_b32 s2, v4
	s_subb_u32 s3, s3, s17
	s_cmp_lg_u32 s20, 0
	s_subb_u32 s17, s3, 0
	s_delay_alu instid0(VALU_DEP_1) | instskip(SKIP_4) | instid1(SALU_CYCLE_1)
	s_cmp_ge_u32 s2, s9
	s_cselect_b32 s2, -1, 0
	s_cmp_eq_u32 s17, 0
	v_readfirstlane_b32 s17, v1
	s_cselect_b32 s2, s2, -1
	s_cmp_lg_u32 s2, 0
	s_cselect_b32 s2, s21, s16
	s_cselect_b32 s16, s22, s18
	s_cmp_ge_u32 s17, s9
	s_cselect_b32 s17, -1, 0
	s_cmp_eq_u32 s3, 0
	s_cselect_b32 s3, s17, -1
	s_delay_alu instid0(SALU_CYCLE_1) | instskip(SKIP_2) | instid1(SALU_CYCLE_1)
	s_cmp_lg_u32 s3, 0
	s_cselect_b32 s3, s16, s14
	s_cselect_b32 s2, s2, s7
	s_xor_b64 s[2:3], s[2:3], s[12:13]
	s_delay_alu instid0(SALU_CYCLE_1)
	s_sub_u32 s2, s2, s12
	s_subb_u32 s3, s3, s12
	s_cbranch_execnz .LBB30_5
.LBB30_4:
	v_cvt_f32_u32_e32 v1, s9
	s_sub_i32 s3, 0, s9
	s_delay_alu instid0(VALU_DEP_1) | instskip(SKIP_2) | instid1(VALU_DEP_1)
	v_rcp_iflag_f32_e32 v1, v1
	s_waitcnt_depctr 0xfff
	v_mul_f32_e32 v1, 0x4f7ffffe, v1
	v_cvt_u32_f32_e32 v1, v1
	s_delay_alu instid0(VALU_DEP_1) | instskip(NEXT) | instid1(VALU_DEP_1)
	v_readfirstlane_b32 s2, v1
	s_mul_i32 s3, s3, s2
	s_delay_alu instid0(SALU_CYCLE_1) | instskip(NEXT) | instid1(SALU_CYCLE_1)
	s_mul_hi_u32 s3, s2, s3
	s_add_i32 s2, s2, s3
	s_delay_alu instid0(SALU_CYCLE_1) | instskip(NEXT) | instid1(SALU_CYCLE_1)
	s_mul_hi_u32 s2, s6, s2
	s_mul_i32 s3, s2, s9
	s_delay_alu instid0(SALU_CYCLE_1)
	s_sub_i32 s3, s6, s3
	s_add_i32 s6, s2, 1
	s_sub_i32 s7, s3, s9
	s_cmp_ge_u32 s3, s9
	s_cselect_b32 s2, s6, s2
	s_cselect_b32 s3, s7, s3
	s_add_i32 s6, s2, 1
	s_cmp_ge_u32 s3, s9
	s_mov_b32 s3, 0
	s_cselect_b32 s2, s6, s2
.LBB30_5:
	v_mov_b32_e32 v1, 0
	s_add_u32 s2, s2, 1
	s_addc_u32 s3, s3, 0
	s_mul_hi_u32 s6, s8, s2
	s_mul_i32 s3, s8, s3
	v_mad_u64_u32 v[13:14], null, s10, s15, v[0:1]
	s_mul_hi_u32 s7, s11, s10
	s_add_i32 s3, s6, s3
	s_mul_i32 s7, s7, s2
	s_mul_i32 s2, s8, s2
	s_add_i32 s3, s3, s7
	s_mov_b32 s6, exec_lo
	s_lshl_b64 s[2:3], s[2:3], 2
	s_delay_alu instid0(SALU_CYCLE_1)
	v_cmpx_gt_i64_e64 s[2:3], v[13:14]
	s_cbranch_execz .LBB30_26
; %bb.6:
	s_load_b64 s[6:7], s[0:1], 0x40
	v_alignbit_b32 v24, v3, v2, 2
	v_lshrrev_b32_e32 v25, 2, v3
	s_mov_b32 s13, 0x3e9b6dac
	s_waitcnt vmcnt(0)
	v_add_co_u32 v23, null, 0x9e3779b9, v11
	v_add_co_u32 v22, null, 0xdaa66d2b, v11
	;; [unrolled: 1-line block ×4, first 2 shown]
	s_mul_i32 s14, s11, 3
	v_add_co_u32 v28, null, 0xb54cda56, v11
	s_add_i32 s14, s15, s14
	v_add_co_u32 v20, null, 0x5384540f, v11
	s_lshl_b32 s16, s11, 1
	v_add_nc_u32_e32 v18, 0x8ff34781, v11
	s_waitcnt lgkmcnt(0)
	v_cvt_f32_f64_e32 v43, s[6:7]
	s_clause 0x1
	s_load_b64 s[6:7], s[0:1], 0x30
	s_load_b32 s12, s[0:1], 0x38
	s_mov_b32 s0, 0
	s_lshl_b32 s1, s8, 1
	v_add_nc_u32_e32 v19, 0x96a522ad, v12
	s_delay_alu instid0(VALU_DEP_2) | instskip(NEXT) | instid1(VALU_DEP_1)
	v_sub_f32_e32 v1, 1.0, v43
	v_cvt_f64_f32_e32 v[4:5], v1
	s_delay_alu instid0(VALU_DEP_1) | instskip(SKIP_1) | instid1(VALU_DEP_1)
	v_frexp_exp_i32_f64_e32 v4, v[4:5]
	v_frexp_mant_f32_e32 v5, v1
	v_cmp_gt_f32_e32 vcc_lo, 0x3f2aaaab, v5
	s_delay_alu instid0(VALU_DEP_3) | instskip(SKIP_2) | instid1(VALU_DEP_3)
	v_subrev_co_ci_u32_e32 v10, vcc_lo, 0, v4, vcc_lo
	v_add_f32_e32 v4, -1.0, v1
	v_cmp_eq_f32_e32 vcc_lo, 0xff800000, v43
	v_sub_nc_u32_e32 v5, 0, v10
	v_cvt_f32_i32_e32 v10, v10
	s_delay_alu instid0(VALU_DEP_4) | instskip(SKIP_1) | instid1(VALU_DEP_3)
	v_sub_f32_e32 v6, v4, v1
	v_sub_f32_e64 v4, -v43, v4
	v_mul_f32_e32 v37, 0x3f317218, v10
	s_delay_alu instid0(VALU_DEP_3) | instskip(SKIP_1) | instid1(VALU_DEP_1)
	v_add_f32_e32 v6, 1.0, v6
	v_ldexp_f32 v1, v1, v5
	v_dual_add_f32 v4, v4, v6 :: v_dual_add_f32 v7, 1.0, v1
	s_delay_alu instid0(VALU_DEP_1) | instskip(NEXT) | instid1(VALU_DEP_2)
	v_ldexp_f32 v4, v4, v5
	v_dual_add_f32 v6, -1.0, v7 :: v_dual_add_f32 v5, -1.0, v1
	s_delay_alu instid0(VALU_DEP_1) | instskip(NEXT) | instid1(VALU_DEP_2)
	v_sub_f32_e32 v6, v1, v6
	v_add_f32_e32 v8, 1.0, v5
	s_delay_alu instid0(VALU_DEP_1) | instskip(NEXT) | instid1(VALU_DEP_1)
	v_sub_f32_e32 v1, v1, v8
	v_add_f32_e32 v1, v4, v1
	s_delay_alu instid0(VALU_DEP_4) | instskip(NEXT) | instid1(VALU_DEP_2)
	v_add_f32_e32 v6, v4, v6
	v_add_f32_e32 v4, v5, v1
	s_delay_alu instid0(VALU_DEP_1) | instskip(NEXT) | instid1(VALU_DEP_1)
	v_sub_f32_e32 v5, v4, v5
	v_dual_sub_f32 v1, v1, v5 :: v_dual_add_f32 v8, v7, v6
	s_delay_alu instid0(VALU_DEP_1) | instskip(SKIP_3) | instid1(VALU_DEP_2)
	v_rcp_f32_e32 v9, v8
	s_waitcnt_depctr 0xfff
	v_mul_f32_e32 v15, v4, v9
	v_sub_f32_e32 v7, v8, v7
	v_mul_f32_e32 v16, v8, v15
	s_delay_alu instid0(VALU_DEP_2) | instskip(NEXT) | instid1(VALU_DEP_2)
	v_sub_f32_e32 v6, v6, v7
	v_fma_f32 v7, v15, v8, -v16
	s_delay_alu instid0(VALU_DEP_1) | instskip(NEXT) | instid1(VALU_DEP_1)
	v_fmac_f32_e32 v7, v15, v6
	v_add_f32_e32 v17, v16, v7
	s_delay_alu instid0(VALU_DEP_1) | instskip(NEXT) | instid1(VALU_DEP_1)
	v_sub_f32_e32 v26, v4, v17
	v_sub_f32_e32 v4, v4, v26
	s_delay_alu instid0(VALU_DEP_1) | instskip(NEXT) | instid1(VALU_DEP_1)
	v_sub_f32_e32 v4, v4, v17
	v_add_f32_e32 v1, v1, v4
	v_sub_f32_e32 v5, v17, v16
	v_and_b32_e32 v17, 3, v2
	s_delay_alu instid0(VALU_DEP_2) | instskip(NEXT) | instid1(VALU_DEP_1)
	v_sub_f32_e32 v5, v5, v7
	v_add_f32_e32 v4, v5, v1
	v_mad_u64_u32 v[1:2], null, 0xcd9e8d57, v13, 0
	s_delay_alu instid0(VALU_DEP_2) | instskip(NEXT) | instid1(VALU_DEP_2)
	v_add_f32_e32 v5, v26, v4
	v_xor3_b32 v2, v11, v2, v25
	s_delay_alu instid0(VALU_DEP_2) | instskip(NEXT) | instid1(VALU_DEP_1)
	v_mul_f32_e32 v7, v9, v5
	v_mul_f32_e32 v16, v8, v7
	v_dual_mov_b32 v38, v12 :: v_dual_sub_f32 v3, v26, v5
	v_add_co_u32 v26, null, 0x3c6ef372, v11
	s_delay_alu instid0(VALU_DEP_3) | instskip(NEXT) | instid1(VALU_DEP_3)
	v_fma_f32 v8, v7, v8, -v16
	v_add_co_u32 v31, null, 0x76cf5d0a, v38
	s_delay_alu instid0(VALU_DEP_4) | instskip(SKIP_1) | instid1(VALU_DEP_4)
	v_add_f32_e32 v29, v4, v3
	v_mad_u64_u32 v[3:4], null, 0xd2511f53, v24, 0
	v_fmac_f32_e32 v8, v7, v6
	v_add_co_u32 v32, null, 0x32370b8f, v38
	v_add_co_u32 v35, null, 0xa9066899, v38
	s_delay_alu instid0(VALU_DEP_3) | instskip(NEXT) | instid1(VALU_DEP_1)
	v_add_f32_e32 v6, v16, v8
	v_sub_f32_e32 v30, v5, v6
	s_delay_alu instid0(VALU_DEP_1) | instskip(NEXT) | instid1(VALU_DEP_1)
	v_dual_sub_f32 v5, v5, v30 :: v_dual_sub_f32 v16, v6, v16
	v_dual_sub_f32 v5, v5, v6 :: v_dual_sub_f32 v6, v16, v8
	v_add_f32_e32 v16, v15, v7
	v_xor_b32_e32 v8, v4, v12
	s_delay_alu instid0(VALU_DEP_3) | instskip(SKIP_1) | instid1(VALU_DEP_3)
	v_add_f32_e32 v5, v29, v5
	v_add_co_u32 v29, null, 0xf1bbcdc8, v11
	v_xor_b32_e32 v8, v8, v14
	s_delay_alu instid0(VALU_DEP_3) | instskip(SKIP_2) | instid1(VALU_DEP_1)
	v_add_f32_e32 v6, v6, v5
	v_mad_u64_u32 v[4:5], null, 0xd2511f53, v2, 0
	v_sub_f32_e32 v2, v16, v15
	v_sub_f32_e32 v7, v7, v2
	s_delay_alu instid0(VALU_DEP_4) | instskip(SKIP_1) | instid1(VALU_DEP_2)
	v_add_f32_e32 v6, v30, v6
	v_add_co_u32 v30, null, 0xbb67ae85, v38
	v_mul_f32_e32 v6, v9, v6
	s_delay_alu instid0(VALU_DEP_2) | instskip(SKIP_1) | instid1(VALU_DEP_3)
	v_xor3_b32 v9, v30, v5, v3
	v_mad_u64_u32 v[2:3], null, 0xcd9e8d57, v8, 0
	v_add_f32_e32 v15, v7, v6
	s_delay_alu instid0(VALU_DEP_3) | instskip(SKIP_1) | instid1(VALU_DEP_3)
	v_mad_u64_u32 v[5:6], null, 0xcd9e8d57, v9, 0
	v_mad_u64_u32 v[7:8], null, s15, s10, v[0:1]
	v_add_f32_e32 v33, v16, v15
	v_xor3_b32 v3, v23, v3, v1
	s_delay_alu instid0(VALU_DEP_4) | instskip(NEXT) | instid1(VALU_DEP_3)
	v_xor3_b32 v6, v26, v6, v2
	v_mul_f32_e32 v34, v33, v33
	s_delay_alu instid0(VALU_DEP_3) | instskip(NEXT) | instid1(VALU_DEP_3)
	v_mad_u64_u32 v[1:2], null, 0xd2511f53, v3, 0
	v_mad_u64_u32 v[8:9], null, 0xd2511f53, v6, 0
	s_delay_alu instid0(VALU_DEP_3)
	v_fmaak_f32 v3, s13, v34, 0x3ecc95a3
	v_mul_f32_e32 v6, v33, v34
	v_sub_f32_e32 v16, v33, v16
	v_xor3_b32 v4, v31, v2, v4
	s_add_i32 s13, s15, s11
	v_fmaak_f32 v3, v34, v3, 0x3f2aaada
	v_ldexp_f32 v34, v33, 1
	v_xor3_b32 v9, v32, v9, v1
	v_mad_u64_u32 v[1:2], null, 0xcd9e8d57, v4, 0
	s_delay_alu instid0(VALU_DEP_4) | instskip(NEXT) | instid1(VALU_DEP_3)
	v_dual_mul_f32 v6, v6, v3 :: v_dual_mov_b32 v33, v13
	v_mad_u64_u32 v[3:4], null, 0xcd9e8d57, v9, 0
	s_delay_alu instid0(VALU_DEP_2) | instskip(SKIP_3) | instid1(VALU_DEP_3)
	v_dual_sub_f32 v9, v15, v16 :: v_dual_add_f32 v36, v34, v6
	v_fma_f32 v16, 0x3f317218, v10, -v37
	v_xor3_b32 v5, v22, v2, v5
	s_add_i32 s15, s15, s16
	v_ldexp_f32 v9, v9, 1
	s_delay_alu instid0(VALU_DEP_3) | instskip(SKIP_3) | instid1(VALU_DEP_2)
	v_dual_sub_f32 v15, v36, v34 :: v_dual_fmamk_f32 v16, v10, 0xb102e308, v16
	v_add_co_u32 v34, null, 0xed9eba14, v38
	s_waitcnt lgkmcnt(0)
	s_mul_i32 s11, s11, s12
	v_dual_sub_f32 v6, v6, v15 :: v_dual_add_f32 v39, v37, v16
	v_xor3_b32 v15, v27, v4, v1
	v_mad_u64_u32 v[1:2], null, 0xd2511f53, v5, 0
	s_delay_alu instid0(VALU_DEP_3) | instskip(NEXT) | instid1(VALU_DEP_3)
	v_dual_add_f32 v6, v9, v6 :: v_dual_sub_f32 v37, v39, v37
	v_mad_u64_u32 v[4:5], null, 0xd2511f53, v15, 0
	s_mul_i32 s11, s11, s10
	s_delay_alu instid0(VALU_DEP_2) | instskip(NEXT) | instid1(VALU_DEP_4)
	v_add_f32_e32 v40, v36, v6
	v_xor3_b32 v2, v34, v2, v8
	v_mad_u64_u32 v[8:9], null, s13, s10, v[0:1]
	s_lshl_b32 s11, s11, 2
	s_delay_alu instid0(VALU_DEP_3) | instskip(SKIP_2) | instid1(VALU_DEP_3)
	v_add_f32_e32 v41, v39, v40
	v_xor3_b32 v5, v35, v5, v1
	v_mad_u64_u32 v[9:10], null, 0xcd9e8d57, v2, 0
	v_sub_f32_e32 v15, v41, v39
	s_delay_alu instid0(VALU_DEP_3) | instskip(NEXT) | instid1(VALU_DEP_2)
	v_mad_u64_u32 v[1:2], null, 0xcd9e8d57, v5, 0
	v_dual_sub_f32 v42, v16, v37 :: v_dual_sub_f32 v5, v41, v15
	s_delay_alu instid0(VALU_DEP_4) | instskip(SKIP_1) | instid1(VALU_DEP_4)
	v_xor3_b32 v3, v21, v10, v3
	v_sub_f32_e32 v10, v40, v15
	v_xor3_b32 v9, v28, v2, v9
	s_delay_alu instid0(VALU_DEP_4) | instskip(NEXT) | instid1(VALU_DEP_1)
	v_dual_sub_f32 v15, v39, v5 :: v_dual_sub_f32 v36, v40, v36
	v_sub_f32_e32 v44, v6, v36
	v_mad_u64_u32 v[5:6], null, 0xd2511f53, v3, 0
	v_add_co_u32 v36, null, 0x646e171e, v38
	s_delay_alu instid0(VALU_DEP_3) | instskip(SKIP_2) | instid1(VALU_DEP_4)
	v_add_f32_e32 v37, v42, v44
	v_add_f32_e32 v3, v10, v15
	v_mad_u64_u32 v[15:16], null, s14, s10, v[0:1]
	v_xor3_b32 v4, v36, v6, v4
	s_delay_alu instid0(VALU_DEP_3) | instskip(SKIP_1) | instid1(VALU_DEP_3)
	v_add_f32_e32 v16, v37, v3
	v_mad_u64_u32 v[2:3], null, 0xd2511f53, v9, 0
	v_mad_u64_u32 v[9:10], null, 0xcd9e8d57, v4, 0
	s_delay_alu instid0(VALU_DEP_3) | instskip(NEXT) | instid1(VALU_DEP_1)
	v_add_f32_e32 v40, v41, v16
	v_dual_sub_f32 v6, v37, v42 :: v_dual_sub_f32 v39, v40, v41
	s_delay_alu instid0(VALU_DEP_1) | instskip(SKIP_2) | instid1(VALU_DEP_4)
	v_sub_f32_e32 v4, v37, v6
	v_add_co_u32 v37, null, 0x1fd5c5a3, v38
	v_sub_f32_e32 v6, v44, v6
	v_sub_f32_e32 v16, v16, v39
	s_delay_alu instid0(VALU_DEP_4) | instskip(NEXT) | instid1(VALU_DEP_4)
	v_sub_f32_e32 v4, v42, v4
	v_xor3_b32 v3, v37, v3, v5
	v_xor3_b32 v10, v20, v10, v1
	v_mad_u64_u32 v[41:42], null, s15, s10, v[0:1]
	s_delay_alu instid0(VALU_DEP_4) | instskip(NEXT) | instid1(VALU_DEP_4)
	v_add_f32_e32 v6, v6, v4
	v_mad_u64_u32 v[0:1], null, 0xcd9e8d57, v3, 0
	s_delay_alu instid0(VALU_DEP_4) | instskip(NEXT) | instid1(VALU_DEP_3)
	v_mad_u64_u32 v[4:5], null, 0xd2511f53, v10, 0
	v_add_f32_e32 v3, v6, v16
	v_add_co_u32 v38, null, 0xdb3d7428, v38
	v_mul_lo_u32 v39, s12, v7
	v_xor3_b32 v1, v29, v1, v9
	s_delay_alu instid0(VALU_DEP_4) | instskip(NEXT) | instid1(VALU_DEP_4)
	v_add_f32_e32 v3, v40, v3
	v_xor3_b32 v7, v38, v5, v2
	v_cmp_gt_f32_e64 s10, 0x33800000, |v43|
	v_mul_lo_u32 v40, s12, v15
	v_mad_u64_u32 v[5:6], null, 0xd2511f53, v1, 0
	v_cndmask_b32_e64 v3, v3, -v43, vcc_lo
	v_cmp_nlt_f32_e32 vcc_lo, 1.0, v43
	v_mad_u64_u32 v[1:2], null, 0xcd9e8d57, v7, 0
	v_mul_lo_u32 v41, s12, v41
	v_mul_lo_u32 v42, s12, v8
	v_cndmask_b32_e32 v3, 0x7fc00000, v3, vcc_lo
	v_cmp_neq_f32_e32 vcc_lo, 1.0, v43
	v_mov_b32_e32 v44, v14
	s_mov_b32 s12, 0
	v_xor3_b32 v0, v2, v0, v18
	v_xor3_b32 v2, v6, v4, v19
	v_cndmask_b32_e32 v7, 0xff800000, v3, vcc_lo
	v_mov_b32_e32 v3, v5
	s_delay_alu instid0(VALU_DEP_2)
	v_cndmask_b32_e64 v43, v7, -v43, s10
	s_mul_i32 s10, s8, 3
	s_branch .LBB30_8
.LBB30_7:                               ;   in Loop: Header=BB30_8 Depth=1
	s_or_b32 exec_lo, exec_lo, s13
	v_add_co_u32 v13, vcc_lo, v13, s9
	v_add_co_ci_u32_e32 v14, vcc_lo, 0, v14, vcc_lo
	v_mov_b32_e32 v7, v15
	v_dual_mov_b32 v0, v4 :: v_dual_mov_b32 v1, v5
	s_delay_alu instid0(VALU_DEP_3) | instskip(NEXT) | instid1(VALU_DEP_3)
	v_cmp_le_i64_e32 vcc_lo, s[2:3], v[13:14]
	v_dual_mov_b32 v2, v6 :: v_dual_mov_b32 v3, v7
	s_add_i32 s12, s12, s11
	s_waitcnt_vscnt null, 0x0
	s_barrier
	s_or_b32 s0, vcc_lo, s0
	buffer_gl0_inv
	s_and_not1_b32 exec_lo, exec_lo, s0
	s_cbranch_execz .LBB30_26
.LBB30_8:                               ; =>This Inner Loop Header: Depth=1
	v_add_co_u32 v24, vcc_lo, v24, 1
	s_delay_alu instid0(VALU_DEP_1) | instskip(SKIP_2) | instid1(VALU_DEP_1)
	v_cndmask_b32_e64 v4, 0, 1, vcc_lo
	v_add_co_ci_u32_e32 v25, vcc_lo, 0, v25, vcc_lo
	s_mov_b32 s13, exec_lo
	v_cmp_eq_u32_e32 vcc_lo, 0, v25
	s_delay_alu instid0(VALU_DEP_3) | instskip(NEXT) | instid1(VALU_DEP_1)
	v_cndmask_b32_e32 v4, 0, v4, vcc_lo
	v_add_nc_u32_e32 v33, v4, v33
	s_delay_alu instid0(VALU_DEP_1) | instskip(SKIP_2) | instid1(VALU_DEP_2)
	v_cmp_eq_u32_e32 vcc_lo, 0, v33
	v_cndmask_b32_e32 v4, 0, v4, vcc_lo
	v_mad_u64_u32 v[6:7], null, 0xcd9e8d57, v33, 0
	v_add_nc_u32_e32 v44, v4, v44
	v_mad_u64_u32 v[4:5], null, 0xd2511f53, v24, 0
	s_delay_alu instid0(VALU_DEP_3) | instskip(NEXT) | instid1(VALU_DEP_2)
	v_xor3_b32 v9, v7, v11, v25
	v_xor_b32_e32 v5, v5, v12
	s_delay_alu instid0(VALU_DEP_2) | instskip(NEXT) | instid1(VALU_DEP_2)
	v_mad_u64_u32 v[7:8], null, 0xd2511f53, v9, 0
	v_xor_b32_e32 v5, v44, v5
	s_delay_alu instid0(VALU_DEP_2) | instskip(NEXT) | instid1(VALU_DEP_2)
	v_xor3_b32 v8, v30, v8, v4
	v_mad_u64_u32 v[9:10], null, 0xcd9e8d57, v5, 0
	s_delay_alu instid0(VALU_DEP_2) | instskip(NEXT) | instid1(VALU_DEP_2)
	v_mad_u64_u32 v[4:5], null, 0xcd9e8d57, v8, 0
	v_xor3_b32 v6, v23, v10, v6
	s_delay_alu instid0(VALU_DEP_2) | instskip(NEXT) | instid1(VALU_DEP_2)
	v_xor3_b32 v8, v26, v5, v9
	v_mad_u64_u32 v[15:16], null, 0xd2511f53, v6, 0
	s_delay_alu instid0(VALU_DEP_2) | instskip(NEXT) | instid1(VALU_DEP_2)
	v_mad_u64_u32 v[5:6], null, 0xd2511f53, v8, 0
	v_xor3_b32 v9, v31, v16, v7
	s_delay_alu instid0(VALU_DEP_2) | instskip(NEXT) | instid1(VALU_DEP_2)
	v_xor3_b32 v6, v32, v6, v15
	v_mad_u64_u32 v[7:8], null, 0xcd9e8d57, v9, 0
	s_delay_alu instid0(VALU_DEP_1) | instskip(NEXT) | instid1(VALU_DEP_3)
	v_xor3_b32 v4, v22, v8, v4
	v_mad_u64_u32 v[8:9], null, 0xcd9e8d57, v6, 0
	s_delay_alu instid0(VALU_DEP_2) | instskip(NEXT) | instid1(VALU_DEP_2)
	v_mad_u64_u32 v[15:16], null, 0xd2511f53, v4, 0
	v_xor3_b32 v6, v27, v9, v7
	s_delay_alu instid0(VALU_DEP_2) | instskip(NEXT) | instid1(VALU_DEP_2)
	v_xor3_b32 v9, v34, v16, v5
	v_mad_u64_u32 v[4:5], null, 0xd2511f53, v6, 0
	s_delay_alu instid0(VALU_DEP_2) | instskip(NEXT) | instid1(VALU_DEP_2)
	v_mad_u64_u32 v[6:7], null, 0xcd9e8d57, v9, 0
	v_xor3_b32 v5, v35, v5, v15
	s_delay_alu instid0(VALU_DEP_2) | instskip(NEXT) | instid1(VALU_DEP_2)
	;; [unrolled: 6-line block ×6, first 2 shown]
	v_xor3_b32 v4, v6, v7, v18
	v_mov_b32_e32 v6, v10
	v_cmpx_lt_i32_e32 1, v17
	s_xor_b32 s13, exec_lo, s13
	s_cbranch_execnz .LBB30_18
; %bb.9:                                ;   in Loop: Header=BB30_8 Depth=1
	s_and_not1_saveexec_b32 s13, s13
	s_cbranch_execnz .LBB30_23
.LBB30_10:                              ;   in Loop: Header=BB30_8 Depth=1
	s_or_b32 exec_lo, exec_lo, s13
	s_delay_alu instid0(SALU_CYCLE_1)
	s_mov_b32 s13, exec_lo
	v_cmpx_gt_i64_e64 s[4:5], v[13:14]
	s_cbranch_execz .LBB30_12
.LBB30_11:                              ;   in Loop: Header=BB30_8 Depth=1
	v_cvt_f32_u32_e32 v0, v0
	s_delay_alu instid0(VALU_DEP_1) | instskip(NEXT) | instid1(VALU_DEP_1)
	v_fmaak_f32 v0, 0x2f800000, v0, 0x2f800000
	v_cmp_gt_f32_e32 vcc_lo, 0x800000, v0
	v_cndmask_b32_e64 v7, 1.0, 0x4f800000, vcc_lo
	s_delay_alu instid0(VALU_DEP_1) | instskip(NEXT) | instid1(VALU_DEP_1)
	v_mul_f32_e32 v0, v0, v7
	v_log_f32_e32 v0, v0
	s_waitcnt_depctr 0xfff
	v_mul_f32_e32 v7, 0x3f317217, v0
	s_delay_alu instid0(VALU_DEP_1) | instskip(NEXT) | instid1(VALU_DEP_1)
	v_fma_f32 v8, 0x3f317217, v0, -v7
	v_fmac_f32_e32 v8, 0x3377d1cf, v0
	s_delay_alu instid0(VALU_DEP_1) | instskip(SKIP_2) | instid1(VALU_DEP_3)
	v_add_f32_e32 v7, v7, v8
	v_cndmask_b32_e64 v8, 0, 0x41b17218, vcc_lo
	v_cmp_gt_f32_e64 vcc_lo, 0x7f800000, |v0|
	v_cndmask_b32_e32 v0, v0, v7, vcc_lo
	s_delay_alu instid0(VALU_DEP_1) | instskip(NEXT) | instid1(VALU_DEP_1)
	v_sub_f32_e32 v0, v0, v8
	v_div_scale_f32 v7, null, v43, v43, v0
	s_delay_alu instid0(VALU_DEP_1) | instskip(SKIP_2) | instid1(VALU_DEP_1)
	v_rcp_f32_e32 v8, v7
	s_waitcnt_depctr 0xfff
	v_fma_f32 v9, -v7, v8, 1.0
	v_fmac_f32_e32 v8, v9, v8
	v_div_scale_f32 v9, vcc_lo, v0, v43, v0
	s_delay_alu instid0(VALU_DEP_1) | instskip(NEXT) | instid1(VALU_DEP_1)
	v_mul_f32_e32 v10, v9, v8
	v_fma_f32 v16, -v7, v10, v9
	s_delay_alu instid0(VALU_DEP_1) | instskip(NEXT) | instid1(VALU_DEP_1)
	v_fmac_f32_e32 v10, v16, v8
	v_fma_f32 v7, -v7, v10, v9
	s_delay_alu instid0(VALU_DEP_1) | instskip(SKIP_1) | instid1(VALU_DEP_2)
	v_div_fmas_f32 v7, v7, v8, v10
	v_add_nc_u32_e32 v8, s12, v39
	v_div_fixup_f32 v0, v7, v43, v0
	s_delay_alu instid0(VALU_DEP_2) | instskip(SKIP_1) | instid1(VALU_DEP_3)
	v_ashrrev_i32_e32 v9, 31, v8
	v_add_co_u32 v7, vcc_lo, s6, v8
	v_ceil_f32_e32 v0, v0
	s_delay_alu instid0(VALU_DEP_3) | instskip(NEXT) | instid1(VALU_DEP_2)
	v_add_co_ci_u32_e32 v8, vcc_lo, s7, v9, vcc_lo
	v_cvt_f16_f32_e32 v0, v0
	global_store_b16 v[7:8], v0, off
.LBB30_12:                              ;   in Loop: Header=BB30_8 Depth=1
	s_or_b32 exec_lo, exec_lo, s13
	v_add_co_u32 v7, vcc_lo, s8, v13
	v_add_co_ci_u32_e32 v8, vcc_lo, 0, v14, vcc_lo
	s_mov_b32 s13, exec_lo
	s_delay_alu instid0(VALU_DEP_1)
	v_cmpx_gt_i64_e64 s[4:5], v[7:8]
	s_cbranch_execz .LBB30_14
; %bb.13:                               ;   in Loop: Header=BB30_8 Depth=1
	v_cvt_f32_u32_e32 v0, v1
	s_delay_alu instid0(VALU_DEP_1) | instskip(NEXT) | instid1(VALU_DEP_1)
	v_fmaak_f32 v0, 0x2f800000, v0, 0x2f800000
	v_cmp_gt_f32_e32 vcc_lo, 0x800000, v0
	v_cndmask_b32_e64 v1, 1.0, 0x4f800000, vcc_lo
	s_delay_alu instid0(VALU_DEP_1) | instskip(NEXT) | instid1(VALU_DEP_1)
	v_mul_f32_e32 v0, v0, v1
	v_log_f32_e32 v0, v0
	s_waitcnt_depctr 0xfff
	v_mul_f32_e32 v1, 0x3f317217, v0
	s_delay_alu instid0(VALU_DEP_1) | instskip(NEXT) | instid1(VALU_DEP_1)
	v_fma_f32 v7, 0x3f317217, v0, -v1
	v_fmac_f32_e32 v7, 0x3377d1cf, v0
	s_delay_alu instid0(VALU_DEP_1) | instskip(SKIP_2) | instid1(VALU_DEP_3)
	v_add_f32_e32 v1, v1, v7
	v_cndmask_b32_e64 v7, 0, 0x41b17218, vcc_lo
	v_cmp_gt_f32_e64 vcc_lo, 0x7f800000, |v0|
	v_cndmask_b32_e32 v0, v0, v1, vcc_lo
	s_delay_alu instid0(VALU_DEP_1) | instskip(NEXT) | instid1(VALU_DEP_1)
	v_sub_f32_e32 v0, v0, v7
	v_div_scale_f32 v1, null, v43, v43, v0
	s_delay_alu instid0(VALU_DEP_1) | instskip(SKIP_2) | instid1(VALU_DEP_1)
	v_rcp_f32_e32 v7, v1
	s_waitcnt_depctr 0xfff
	v_fma_f32 v8, -v1, v7, 1.0
	v_fmac_f32_e32 v7, v8, v7
	v_div_scale_f32 v8, vcc_lo, v0, v43, v0
	s_delay_alu instid0(VALU_DEP_1) | instskip(NEXT) | instid1(VALU_DEP_1)
	v_mul_f32_e32 v9, v8, v7
	v_fma_f32 v10, -v1, v9, v8
	s_delay_alu instid0(VALU_DEP_1) | instskip(NEXT) | instid1(VALU_DEP_1)
	v_fmac_f32_e32 v9, v10, v7
	v_fma_f32 v1, -v1, v9, v8
	s_delay_alu instid0(VALU_DEP_1) | instskip(SKIP_1) | instid1(VALU_DEP_2)
	v_div_fmas_f32 v1, v1, v7, v9
	v_add_nc_u32_e32 v7, s12, v42
	v_div_fixup_f32 v0, v1, v43, v0
	s_delay_alu instid0(VALU_DEP_2) | instskip(NEXT) | instid1(VALU_DEP_2)
	v_ashrrev_i32_e32 v1, 31, v7
	v_ceil_f32_e32 v8, v0
	v_add_co_u32 v0, vcc_lo, s6, v7
	s_delay_alu instid0(VALU_DEP_3) | instskip(NEXT) | instid1(VALU_DEP_3)
	v_add_co_ci_u32_e32 v1, vcc_lo, s7, v1, vcc_lo
	v_cvt_f16_f32_e32 v7, v8
	global_store_b16 v[0:1], v7, off
.LBB30_14:                              ;   in Loop: Header=BB30_8 Depth=1
	s_or_b32 exec_lo, exec_lo, s13
	v_add_co_u32 v0, vcc_lo, s1, v13
	v_add_co_ci_u32_e32 v1, vcc_lo, 0, v14, vcc_lo
	s_mov_b32 s13, exec_lo
	s_delay_alu instid0(VALU_DEP_1)
	v_cmpx_gt_i64_e64 s[4:5], v[0:1]
	s_cbranch_execz .LBB30_16
; %bb.15:                               ;   in Loop: Header=BB30_8 Depth=1
	v_cvt_f32_u32_e32 v0, v2
	s_delay_alu instid0(VALU_DEP_1) | instskip(NEXT) | instid1(VALU_DEP_1)
	v_fmaak_f32 v0, 0x2f800000, v0, 0x2f800000
	v_cmp_gt_f32_e32 vcc_lo, 0x800000, v0
	v_cndmask_b32_e64 v1, 1.0, 0x4f800000, vcc_lo
	s_delay_alu instid0(VALU_DEP_1) | instskip(NEXT) | instid1(VALU_DEP_1)
	v_mul_f32_e32 v0, v0, v1
	v_log_f32_e32 v0, v0
	s_waitcnt_depctr 0xfff
	v_mul_f32_e32 v1, 0x3f317217, v0
	s_delay_alu instid0(VALU_DEP_1) | instskip(NEXT) | instid1(VALU_DEP_1)
	v_fma_f32 v2, 0x3f317217, v0, -v1
	v_fmac_f32_e32 v2, 0x3377d1cf, v0
	s_delay_alu instid0(VALU_DEP_1) | instskip(SKIP_2) | instid1(VALU_DEP_3)
	v_add_f32_e32 v1, v1, v2
	v_cndmask_b32_e64 v2, 0, 0x41b17218, vcc_lo
	v_cmp_gt_f32_e64 vcc_lo, 0x7f800000, |v0|
	v_cndmask_b32_e32 v0, v0, v1, vcc_lo
	s_delay_alu instid0(VALU_DEP_1) | instskip(NEXT) | instid1(VALU_DEP_1)
	v_sub_f32_e32 v0, v0, v2
	v_div_scale_f32 v1, null, v43, v43, v0
	s_delay_alu instid0(VALU_DEP_1) | instskip(SKIP_2) | instid1(VALU_DEP_1)
	v_rcp_f32_e32 v2, v1
	s_waitcnt_depctr 0xfff
	v_fma_f32 v7, -v1, v2, 1.0
	v_fmac_f32_e32 v2, v7, v2
	v_div_scale_f32 v7, vcc_lo, v0, v43, v0
	s_delay_alu instid0(VALU_DEP_1) | instskip(NEXT) | instid1(VALU_DEP_1)
	v_mul_f32_e32 v8, v7, v2
	v_fma_f32 v9, -v1, v8, v7
	s_delay_alu instid0(VALU_DEP_1) | instskip(NEXT) | instid1(VALU_DEP_1)
	v_fmac_f32_e32 v8, v9, v2
	v_fma_f32 v1, -v1, v8, v7
	s_delay_alu instid0(VALU_DEP_1) | instskip(SKIP_1) | instid1(VALU_DEP_2)
	v_div_fmas_f32 v1, v1, v2, v8
	v_add_nc_u32_e32 v2, s12, v41
	v_div_fixup_f32 v0, v1, v43, v0
	s_delay_alu instid0(VALU_DEP_2) | instskip(NEXT) | instid1(VALU_DEP_2)
	v_ashrrev_i32_e32 v1, 31, v2
	v_ceil_f32_e32 v7, v0
	v_add_co_u32 v0, vcc_lo, s6, v2
	s_delay_alu instid0(VALU_DEP_3) | instskip(NEXT) | instid1(VALU_DEP_3)
	v_add_co_ci_u32_e32 v1, vcc_lo, s7, v1, vcc_lo
	v_cvt_f16_f32_e32 v2, v7
	global_store_b16 v[0:1], v2, off
.LBB30_16:                              ;   in Loop: Header=BB30_8 Depth=1
	s_or_b32 exec_lo, exec_lo, s13
	v_add_co_u32 v0, vcc_lo, s10, v13
	v_add_co_ci_u32_e32 v1, vcc_lo, 0, v14, vcc_lo
	s_mov_b32 s13, exec_lo
	s_delay_alu instid0(VALU_DEP_1)
	v_cmpx_gt_i64_e64 s[4:5], v[0:1]
	s_cbranch_execz .LBB30_7
; %bb.17:                               ;   in Loop: Header=BB30_8 Depth=1
	v_cvt_f32_u32_e32 v0, v3
	s_delay_alu instid0(VALU_DEP_1) | instskip(NEXT) | instid1(VALU_DEP_1)
	v_fmaak_f32 v0, 0x2f800000, v0, 0x2f800000
	v_cmp_gt_f32_e32 vcc_lo, 0x800000, v0
	v_cndmask_b32_e64 v1, 1.0, 0x4f800000, vcc_lo
	s_delay_alu instid0(VALU_DEP_1) | instskip(NEXT) | instid1(VALU_DEP_1)
	v_mul_f32_e32 v0, v0, v1
	v_log_f32_e32 v0, v0
	s_waitcnt_depctr 0xfff
	v_mul_f32_e32 v1, 0x3f317217, v0
	s_delay_alu instid0(VALU_DEP_1) | instskip(NEXT) | instid1(VALU_DEP_1)
	v_fma_f32 v2, 0x3f317217, v0, -v1
	v_fmac_f32_e32 v2, 0x3377d1cf, v0
	s_delay_alu instid0(VALU_DEP_1) | instskip(SKIP_2) | instid1(VALU_DEP_3)
	v_add_f32_e32 v1, v1, v2
	v_cndmask_b32_e64 v2, 0, 0x41b17218, vcc_lo
	v_cmp_gt_f32_e64 vcc_lo, 0x7f800000, |v0|
	v_cndmask_b32_e32 v0, v0, v1, vcc_lo
	s_delay_alu instid0(VALU_DEP_1) | instskip(NEXT) | instid1(VALU_DEP_1)
	v_sub_f32_e32 v0, v0, v2
	v_div_scale_f32 v1, null, v43, v43, v0
	s_delay_alu instid0(VALU_DEP_1) | instskip(SKIP_2) | instid1(VALU_DEP_1)
	v_rcp_f32_e32 v2, v1
	s_waitcnt_depctr 0xfff
	v_fma_f32 v3, -v1, v2, 1.0
	v_fmac_f32_e32 v2, v3, v2
	v_div_scale_f32 v3, vcc_lo, v0, v43, v0
	s_delay_alu instid0(VALU_DEP_1) | instskip(NEXT) | instid1(VALU_DEP_1)
	v_mul_f32_e32 v7, v3, v2
	v_fma_f32 v8, -v1, v7, v3
	s_delay_alu instid0(VALU_DEP_1) | instskip(NEXT) | instid1(VALU_DEP_1)
	v_fmac_f32_e32 v7, v8, v2
	v_fma_f32 v1, -v1, v7, v3
	s_delay_alu instid0(VALU_DEP_1) | instskip(SKIP_1) | instid1(VALU_DEP_2)
	v_div_fmas_f32 v1, v1, v2, v7
	v_add_nc_u32_e32 v2, s12, v40
	v_div_fixup_f32 v0, v1, v43, v0
	s_delay_alu instid0(VALU_DEP_2) | instskip(NEXT) | instid1(VALU_DEP_2)
	v_ashrrev_i32_e32 v1, 31, v2
	v_ceil_f32_e32 v3, v0
	v_add_co_u32 v0, vcc_lo, s6, v2
	s_delay_alu instid0(VALU_DEP_3) | instskip(NEXT) | instid1(VALU_DEP_3)
	v_add_co_ci_u32_e32 v1, vcc_lo, s7, v1, vcc_lo
	v_cvt_f16_f32_e32 v2, v3
	global_store_b16 v[0:1], v2, off
	s_branch .LBB30_7
.LBB30_18:                              ;   in Loop: Header=BB30_8 Depth=1
	s_mov_b32 s14, exec_lo
	v_cmpx_lt_i32_e32 2, v17
	s_xor_b32 s14, exec_lo, s14
; %bb.19:                               ;   in Loop: Header=BB30_8 Depth=1
	v_dual_mov_b32 v7, v3 :: v_dual_mov_b32 v8, v4
	v_mov_b32_e32 v9, v5
	s_delay_alu instid0(VALU_DEP_2) | instskip(NEXT) | instid1(VALU_DEP_2)
	v_dual_mov_b32 v0, v7 :: v_dual_mov_b32 v1, v8
	v_dual_mov_b32 v2, v9 :: v_dual_mov_b32 v3, v10
; %bb.20:                               ;   in Loop: Header=BB30_8 Depth=1
	s_and_not1_saveexec_b32 s14, s14
; %bb.21:                               ;   in Loop: Header=BB30_8 Depth=1
	s_delay_alu instid0(VALU_DEP_1)
	v_dual_mov_b32 v0, v2 :: v_dual_mov_b32 v1, v3
	v_dual_mov_b32 v2, v4 :: v_dual_mov_b32 v3, v5
; %bb.22:                               ;   in Loop: Header=BB30_8 Depth=1
	s_or_b32 exec_lo, exec_lo, s14
	s_and_not1_saveexec_b32 s13, s13
	s_cbranch_execz .LBB30_10
.LBB30_23:                              ;   in Loop: Header=BB30_8 Depth=1
	s_mov_b32 s14, exec_lo
	v_cmpx_eq_u32_e32 1, v17
; %bb.24:                               ;   in Loop: Header=BB30_8 Depth=1
	v_dual_mov_b32 v0, v1 :: v_dual_mov_b32 v1, v2
	v_dual_mov_b32 v2, v3 :: v_dual_mov_b32 v3, v4
; %bb.25:                               ;   in Loop: Header=BB30_8 Depth=1
	s_or_b32 exec_lo, exec_lo, s14
	s_delay_alu instid0(SALU_CYCLE_1) | instskip(NEXT) | instid1(SALU_CYCLE_1)
	s_or_b32 exec_lo, exec_lo, s13
	s_mov_b32 s13, exec_lo
	v_cmpx_gt_i64_e64 s[4:5], v[13:14]
	s_cbranch_execnz .LBB30_11
	s_branch .LBB30_12
.LBB30_26:
	s_endpgm
.LBB30_27:
                                        ; implicit-def: $sgpr2_sgpr3
	s_branch .LBB30_4
	.section	.rodata,"a",@progbits
	.p2align	6, 0x0
	.amdhsa_kernel _ZN2at6native12_GLOBAL__N_143distribution_elementwise_grid_stride_kernelIfLi4EZNS0_9templates4cuda21uniform_and_transformIN3c104HalfEfPNS_17CUDAGeneratorImplEZZZNS4_16geometric_kernelIS9_EEvRNS_18TensorIteratorBaseEdT_ENKUlvE_clEvENKUlvE6_clEvEUlfE_EEvSC_T1_T2_EUlP25hiprandStatePhilox4_32_10E0_ZNS1_27distribution_nullary_kernelIS7_f15HIP_vector_typeIfLj4EES9_SL_SG_EEvSC_SI_RKT3_T4_EUlifE_EEvlNS_15PhiloxCudaStateESH_SI_
		.amdhsa_group_segment_fixed_size 0
		.amdhsa_private_segment_fixed_size 0
		.amdhsa_kernarg_size 328
		.amdhsa_user_sgpr_count 15
		.amdhsa_user_sgpr_dispatch_ptr 0
		.amdhsa_user_sgpr_queue_ptr 0
		.amdhsa_user_sgpr_kernarg_segment_ptr 1
		.amdhsa_user_sgpr_dispatch_id 0
		.amdhsa_user_sgpr_private_segment_size 0
		.amdhsa_wavefront_size32 1
		.amdhsa_uses_dynamic_stack 0
		.amdhsa_enable_private_segment 0
		.amdhsa_system_sgpr_workgroup_id_x 1
		.amdhsa_system_sgpr_workgroup_id_y 0
		.amdhsa_system_sgpr_workgroup_id_z 0
		.amdhsa_system_sgpr_workgroup_info 0
		.amdhsa_system_vgpr_workitem_id 0
		.amdhsa_next_free_vgpr 45
		.amdhsa_next_free_sgpr 23
		.amdhsa_reserve_vcc 1
		.amdhsa_float_round_mode_32 0
		.amdhsa_float_round_mode_16_64 0
		.amdhsa_float_denorm_mode_32 3
		.amdhsa_float_denorm_mode_16_64 3
		.amdhsa_dx10_clamp 1
		.amdhsa_ieee_mode 1
		.amdhsa_fp16_overflow 0
		.amdhsa_workgroup_processor_mode 1
		.amdhsa_memory_ordered 1
		.amdhsa_forward_progress 0
		.amdhsa_shared_vgpr_count 0
		.amdhsa_exception_fp_ieee_invalid_op 0
		.amdhsa_exception_fp_denorm_src 0
		.amdhsa_exception_fp_ieee_div_zero 0
		.amdhsa_exception_fp_ieee_overflow 0
		.amdhsa_exception_fp_ieee_underflow 0
		.amdhsa_exception_fp_ieee_inexact 0
		.amdhsa_exception_int_div_zero 0
	.end_amdhsa_kernel
	.section	.text._ZN2at6native12_GLOBAL__N_143distribution_elementwise_grid_stride_kernelIfLi4EZNS0_9templates4cuda21uniform_and_transformIN3c104HalfEfPNS_17CUDAGeneratorImplEZZZNS4_16geometric_kernelIS9_EEvRNS_18TensorIteratorBaseEdT_ENKUlvE_clEvENKUlvE6_clEvEUlfE_EEvSC_T1_T2_EUlP25hiprandStatePhilox4_32_10E0_ZNS1_27distribution_nullary_kernelIS7_f15HIP_vector_typeIfLj4EES9_SL_SG_EEvSC_SI_RKT3_T4_EUlifE_EEvlNS_15PhiloxCudaStateESH_SI_,"axG",@progbits,_ZN2at6native12_GLOBAL__N_143distribution_elementwise_grid_stride_kernelIfLi4EZNS0_9templates4cuda21uniform_and_transformIN3c104HalfEfPNS_17CUDAGeneratorImplEZZZNS4_16geometric_kernelIS9_EEvRNS_18TensorIteratorBaseEdT_ENKUlvE_clEvENKUlvE6_clEvEUlfE_EEvSC_T1_T2_EUlP25hiprandStatePhilox4_32_10E0_ZNS1_27distribution_nullary_kernelIS7_f15HIP_vector_typeIfLj4EES9_SL_SG_EEvSC_SI_RKT3_T4_EUlifE_EEvlNS_15PhiloxCudaStateESH_SI_,comdat
.Lfunc_end30:
	.size	_ZN2at6native12_GLOBAL__N_143distribution_elementwise_grid_stride_kernelIfLi4EZNS0_9templates4cuda21uniform_and_transformIN3c104HalfEfPNS_17CUDAGeneratorImplEZZZNS4_16geometric_kernelIS9_EEvRNS_18TensorIteratorBaseEdT_ENKUlvE_clEvENKUlvE6_clEvEUlfE_EEvSC_T1_T2_EUlP25hiprandStatePhilox4_32_10E0_ZNS1_27distribution_nullary_kernelIS7_f15HIP_vector_typeIfLj4EES9_SL_SG_EEvSC_SI_RKT3_T4_EUlifE_EEvlNS_15PhiloxCudaStateESH_SI_, .Lfunc_end30-_ZN2at6native12_GLOBAL__N_143distribution_elementwise_grid_stride_kernelIfLi4EZNS0_9templates4cuda21uniform_and_transformIN3c104HalfEfPNS_17CUDAGeneratorImplEZZZNS4_16geometric_kernelIS9_EEvRNS_18TensorIteratorBaseEdT_ENKUlvE_clEvENKUlvE6_clEvEUlfE_EEvSC_T1_T2_EUlP25hiprandStatePhilox4_32_10E0_ZNS1_27distribution_nullary_kernelIS7_f15HIP_vector_typeIfLj4EES9_SL_SG_EEvSC_SI_RKT3_T4_EUlifE_EEvlNS_15PhiloxCudaStateESH_SI_
                                        ; -- End function
	.section	.AMDGPU.csdata,"",@progbits
; Kernel info:
; codeLenInByte = 4416
; NumSgprs: 25
; NumVgprs: 45
; ScratchSize: 0
; MemoryBound: 0
; FloatMode: 240
; IeeeMode: 1
; LDSByteSize: 0 bytes/workgroup (compile time only)
; SGPRBlocks: 3
; VGPRBlocks: 5
; NumSGPRsForWavesPerEU: 25
; NumVGPRsForWavesPerEU: 45
; Occupancy: 16
; WaveLimiterHint : 0
; COMPUTE_PGM_RSRC2:SCRATCH_EN: 0
; COMPUTE_PGM_RSRC2:USER_SGPR: 15
; COMPUTE_PGM_RSRC2:TRAP_HANDLER: 0
; COMPUTE_PGM_RSRC2:TGID_X_EN: 1
; COMPUTE_PGM_RSRC2:TGID_Y_EN: 0
; COMPUTE_PGM_RSRC2:TGID_Z_EN: 0
; COMPUTE_PGM_RSRC2:TIDIG_COMP_CNT: 0
	.section	.text._ZN2at6native12_GLOBAL__N_143distribution_elementwise_grid_stride_kernelIfLi4EZNS0_9templates4cuda21uniform_and_transformIN3c104HalfEfPNS_17CUDAGeneratorImplEZZZNS4_16geometric_kernelIS9_EEvRNS_18TensorIteratorBaseEdT_ENKUlvE_clEvENKUlvE6_clEvEUlfE_EEvSC_T1_T2_EUlP25hiprandStatePhilox4_32_10E0_ZNS1_27distribution_nullary_kernelIS7_f15HIP_vector_typeIfLj4EES9_SL_SG_EEvSC_SI_RKT3_T4_EUlifE0_EEvlNS_15PhiloxCudaStateESH_SI_,"axG",@progbits,_ZN2at6native12_GLOBAL__N_143distribution_elementwise_grid_stride_kernelIfLi4EZNS0_9templates4cuda21uniform_and_transformIN3c104HalfEfPNS_17CUDAGeneratorImplEZZZNS4_16geometric_kernelIS9_EEvRNS_18TensorIteratorBaseEdT_ENKUlvE_clEvENKUlvE6_clEvEUlfE_EEvSC_T1_T2_EUlP25hiprandStatePhilox4_32_10E0_ZNS1_27distribution_nullary_kernelIS7_f15HIP_vector_typeIfLj4EES9_SL_SG_EEvSC_SI_RKT3_T4_EUlifE0_EEvlNS_15PhiloxCudaStateESH_SI_,comdat
	.globl	_ZN2at6native12_GLOBAL__N_143distribution_elementwise_grid_stride_kernelIfLi4EZNS0_9templates4cuda21uniform_and_transformIN3c104HalfEfPNS_17CUDAGeneratorImplEZZZNS4_16geometric_kernelIS9_EEvRNS_18TensorIteratorBaseEdT_ENKUlvE_clEvENKUlvE6_clEvEUlfE_EEvSC_T1_T2_EUlP25hiprandStatePhilox4_32_10E0_ZNS1_27distribution_nullary_kernelIS7_f15HIP_vector_typeIfLj4EES9_SL_SG_EEvSC_SI_RKT3_T4_EUlifE0_EEvlNS_15PhiloxCudaStateESH_SI_ ; -- Begin function _ZN2at6native12_GLOBAL__N_143distribution_elementwise_grid_stride_kernelIfLi4EZNS0_9templates4cuda21uniform_and_transformIN3c104HalfEfPNS_17CUDAGeneratorImplEZZZNS4_16geometric_kernelIS9_EEvRNS_18TensorIteratorBaseEdT_ENKUlvE_clEvENKUlvE6_clEvEUlfE_EEvSC_T1_T2_EUlP25hiprandStatePhilox4_32_10E0_ZNS1_27distribution_nullary_kernelIS7_f15HIP_vector_typeIfLj4EES9_SL_SG_EEvSC_SI_RKT3_T4_EUlifE0_EEvlNS_15PhiloxCudaStateESH_SI_
	.p2align	8
	.type	_ZN2at6native12_GLOBAL__N_143distribution_elementwise_grid_stride_kernelIfLi4EZNS0_9templates4cuda21uniform_and_transformIN3c104HalfEfPNS_17CUDAGeneratorImplEZZZNS4_16geometric_kernelIS9_EEvRNS_18TensorIteratorBaseEdT_ENKUlvE_clEvENKUlvE6_clEvEUlfE_EEvSC_T1_T2_EUlP25hiprandStatePhilox4_32_10E0_ZNS1_27distribution_nullary_kernelIS7_f15HIP_vector_typeIfLj4EES9_SL_SG_EEvSC_SI_RKT3_T4_EUlifE0_EEvlNS_15PhiloxCudaStateESH_SI_,@function
_ZN2at6native12_GLOBAL__N_143distribution_elementwise_grid_stride_kernelIfLi4EZNS0_9templates4cuda21uniform_and_transformIN3c104HalfEfPNS_17CUDAGeneratorImplEZZZNS4_16geometric_kernelIS9_EEvRNS_18TensorIteratorBaseEdT_ENKUlvE_clEvENKUlvE6_clEvEUlfE_EEvSC_T1_T2_EUlP25hiprandStatePhilox4_32_10E0_ZNS1_27distribution_nullary_kernelIS7_f15HIP_vector_typeIfLj4EES9_SL_SG_EEvSC_SI_RKT3_T4_EUlifE0_EEvlNS_15PhiloxCudaStateESH_SI_: ; @_ZN2at6native12_GLOBAL__N_143distribution_elementwise_grid_stride_kernelIfLi4EZNS0_9templates4cuda21uniform_and_transformIN3c104HalfEfPNS_17CUDAGeneratorImplEZZZNS4_16geometric_kernelIS9_EEvRNS_18TensorIteratorBaseEdT_ENKUlvE_clEvENKUlvE6_clEvEUlfE_EEvSC_T1_T2_EUlP25hiprandStatePhilox4_32_10E0_ZNS1_27distribution_nullary_kernelIS7_f15HIP_vector_typeIfLj4EES9_SL_SG_EEvSC_SI_RKT3_T4_EUlifE0_EEvlNS_15PhiloxCudaStateESH_SI_
; %bb.0:
	s_clause 0x2
	s_load_b64 s[4:5], s[0:1], 0x10
	s_load_b128 s[16:19], s[0:1], 0x0
	s_load_b32 s2, s[0:1], 0x20
	s_waitcnt lgkmcnt(0)
	v_dual_mov_b32 v2, s4 :: v_dual_mov_b32 v3, s5
	v_dual_mov_b32 v11, s18 :: v_dual_mov_b32 v12, s19
	s_bitcmp0_b32 s2, 0
	s_mov_b32 s2, 0
	s_cbranch_scc1 .LBB31_2
; %bb.1:
	v_dual_mov_b32 v1, s4 :: v_dual_mov_b32 v2, s5
	v_dual_mov_b32 v4, s18 :: v_dual_mov_b32 v5, s19
	s_load_b64 s[4:5], s[0:1], 0x18
	flat_load_b64 v[2:3], v[1:2]
	flat_load_b64 v[11:12], v[4:5]
	s_waitcnt vmcnt(1) lgkmcnt(0)
	v_add_co_u32 v2, vcc_lo, v2, s4
	v_add_co_ci_u32_e32 v3, vcc_lo, s5, v3, vcc_lo
.LBB31_2:
	s_clause 0x1
	s_load_b32 s3, s[0:1], 0x154
	s_load_b32 s4, s[0:1], 0x148
	s_waitcnt lgkmcnt(0)
	s_and_b32 s5, s3, 0xffff
	s_add_u32 s6, s16, -1
	s_mul_i32 s24, s4, s5
	s_addc_u32 s3, s17, -1
	s_lshl_b32 s25, s24, 2
	s_cmp_lg_u64 s[2:3], 0
	s_cbranch_scc0 .LBB31_79
; %bb.3:
	v_cvt_f32_ubyte0_e32 v1, 0
	v_cvt_f32_u32_e32 v4, s25
	s_sub_u32 s8, 0, s25
	s_subb_u32 s9, 0, 0
	s_delay_alu instid0(VALU_DEP_1) | instskip(NEXT) | instid1(VALU_DEP_1)
	v_fmamk_f32 v1, v1, 0x4f800000, v4
	v_rcp_f32_e32 v1, v1
	s_waitcnt_depctr 0xfff
	v_mul_f32_e32 v1, 0x5f7ffffc, v1
	s_delay_alu instid0(VALU_DEP_1) | instskip(NEXT) | instid1(VALU_DEP_1)
	v_mul_f32_e32 v4, 0x2f800000, v1
	v_trunc_f32_e32 v4, v4
	s_delay_alu instid0(VALU_DEP_1) | instskip(SKIP_1) | instid1(VALU_DEP_2)
	v_fmamk_f32 v1, v4, 0xcf800000, v1
	v_cvt_u32_f32_e32 v4, v4
	v_cvt_u32_f32_e32 v1, v1
	s_delay_alu instid0(VALU_DEP_2) | instskip(NEXT) | instid1(VALU_DEP_2)
	v_readfirstlane_b32 s2, v4
	v_readfirstlane_b32 s7, v1
	s_delay_alu instid0(VALU_DEP_2) | instskip(NEXT) | instid1(VALU_DEP_1)
	s_mul_i32 s10, s8, s2
	s_mul_hi_u32 s12, s8, s7
	s_mul_i32 s11, s9, s7
	s_add_i32 s10, s12, s10
	s_mul_i32 s13, s8, s7
	s_add_i32 s10, s10, s11
	s_mul_hi_u32 s12, s7, s13
	s_mul_hi_u32 s14, s2, s13
	s_mul_i32 s11, s2, s13
	s_mul_hi_u32 s13, s7, s10
	s_mul_i32 s7, s7, s10
	s_mul_hi_u32 s18, s2, s10
	s_add_u32 s7, s12, s7
	s_addc_u32 s12, 0, s13
	s_add_u32 s7, s7, s11
	s_mul_i32 s10, s2, s10
	s_addc_u32 s7, s12, s14
	s_addc_u32 s11, s18, 0
	s_add_u32 s7, s7, s10
	s_addc_u32 s10, 0, s11
	v_add_co_u32 v1, s7, v1, s7
	s_delay_alu instid0(VALU_DEP_1) | instskip(SKIP_1) | instid1(VALU_DEP_1)
	s_cmp_lg_u32 s7, 0
	s_addc_u32 s2, s2, s10
	v_readfirstlane_b32 s7, v1
	s_mul_i32 s10, s8, s2
	s_delay_alu instid0(VALU_DEP_1)
	s_mul_hi_u32 s11, s8, s7
	s_mul_i32 s9, s9, s7
	s_add_i32 s10, s11, s10
	s_mul_i32 s8, s8, s7
	s_add_i32 s10, s10, s9
	s_mul_hi_u32 s11, s2, s8
	s_mul_i32 s12, s2, s8
	s_mul_hi_u32 s8, s7, s8
	s_mul_hi_u32 s13, s7, s10
	s_mul_i32 s7, s7, s10
	s_mul_hi_u32 s9, s2, s10
	s_add_u32 s7, s8, s7
	s_addc_u32 s8, 0, s13
	s_add_u32 s7, s7, s12
	s_mul_i32 s10, s2, s10
	s_addc_u32 s7, s8, s11
	s_addc_u32 s8, s9, 0
	s_add_u32 s7, s7, s10
	s_addc_u32 s8, 0, s8
	v_add_co_u32 v1, s7, v1, s7
	s_delay_alu instid0(VALU_DEP_1) | instskip(SKIP_2) | instid1(VALU_DEP_1)
	s_cmp_lg_u32 s7, 0
	s_addc_u32 s7, s2, s8
	s_ashr_i32 s8, s3, 31
	v_readfirstlane_b32 s10, v1
	s_add_u32 s2, s6, s8
	s_mov_b32 s9, s8
	s_addc_u32 s3, s3, s8
	s_delay_alu instid0(SALU_CYCLE_1) | instskip(NEXT) | instid1(SALU_CYCLE_1)
	s_xor_b64 s[2:3], s[2:3], s[8:9]
	s_mul_i32 s12, s2, s7
	s_mul_hi_u32 s13, s2, s10
	s_mul_hi_u32 s11, s2, s7
	;; [unrolled: 1-line block ×3, first 2 shown]
	s_mul_i32 s10, s3, s10
	s_add_u32 s12, s13, s12
	s_addc_u32 s11, 0, s11
	s_mul_hi_u32 s14, s3, s7
	s_add_u32 s10, s12, s10
	s_mul_i32 s7, s3, s7
	s_addc_u32 s10, s11, s18
	s_addc_u32 s11, s14, 0
	s_add_u32 s7, s10, s7
	s_addc_u32 s10, 0, s11
	s_mul_i32 s12, s25, s7
	s_add_u32 s11, s7, 1
	v_sub_co_u32 v1, s2, s2, s12
	s_mul_hi_u32 s12, s25, s7
	s_addc_u32 s13, s10, 0
	s_mul_i32 s14, s25, s10
	s_delay_alu instid0(VALU_DEP_1)
	v_sub_co_u32 v4, s18, v1, s25
	s_add_u32 s19, s7, 2
	s_addc_u32 s20, s10, 0
	s_add_i32 s12, s12, s14
	s_cmp_lg_u32 s2, 0
	v_readfirstlane_b32 s2, v4
	s_subb_u32 s3, s3, s12
	s_cmp_lg_u32 s18, 0
	s_subb_u32 s12, s3, 0
	s_delay_alu instid0(VALU_DEP_1) | instskip(SKIP_4) | instid1(SALU_CYCLE_1)
	s_cmp_ge_u32 s2, s25
	s_cselect_b32 s2, -1, 0
	s_cmp_eq_u32 s12, 0
	v_readfirstlane_b32 s12, v1
	s_cselect_b32 s2, s2, -1
	s_cmp_lg_u32 s2, 0
	s_cselect_b32 s2, s19, s11
	s_cselect_b32 s11, s20, s13
	s_cmp_ge_u32 s12, s25
	s_cselect_b32 s12, -1, 0
	s_cmp_eq_u32 s3, 0
	s_cselect_b32 s3, s12, -1
	s_delay_alu instid0(SALU_CYCLE_1) | instskip(SKIP_2) | instid1(SALU_CYCLE_1)
	s_cmp_lg_u32 s3, 0
	s_cselect_b32 s3, s11, s10
	s_cselect_b32 s2, s2, s7
	s_xor_b64 s[2:3], s[2:3], s[8:9]
	s_delay_alu instid0(SALU_CYCLE_1)
	s_sub_u32 s2, s2, s8
	s_subb_u32 s3, s3, s8
	s_cbranch_execnz .LBB31_5
.LBB31_4:
	v_cvt_f32_u32_e32 v1, s25
	s_sub_i32 s3, 0, s25
	s_delay_alu instid0(VALU_DEP_1) | instskip(SKIP_2) | instid1(VALU_DEP_1)
	v_rcp_iflag_f32_e32 v1, v1
	s_waitcnt_depctr 0xfff
	v_mul_f32_e32 v1, 0x4f7ffffe, v1
	v_cvt_u32_f32_e32 v1, v1
	s_delay_alu instid0(VALU_DEP_1) | instskip(NEXT) | instid1(VALU_DEP_1)
	v_readfirstlane_b32 s2, v1
	s_mul_i32 s3, s3, s2
	s_delay_alu instid0(SALU_CYCLE_1) | instskip(NEXT) | instid1(SALU_CYCLE_1)
	s_mul_hi_u32 s3, s2, s3
	s_add_i32 s2, s2, s3
	s_delay_alu instid0(SALU_CYCLE_1) | instskip(NEXT) | instid1(SALU_CYCLE_1)
	s_mul_hi_u32 s2, s6, s2
	s_mul_i32 s3, s2, s25
	s_delay_alu instid0(SALU_CYCLE_1)
	s_sub_i32 s3, s6, s3
	s_add_i32 s6, s2, 1
	s_sub_i32 s7, s3, s25
	s_cmp_ge_u32 s3, s25
	s_cselect_b32 s2, s6, s2
	s_cselect_b32 s3, s7, s3
	s_add_i32 s6, s2, 1
	s_cmp_ge_u32 s3, s25
	s_mov_b32 s3, 0
	s_cselect_b32 s2, s6, s2
.LBB31_5:
	v_mov_b32_e32 v1, 0
	s_add_u32 s2, s2, 1
	s_addc_u32 s3, s3, 0
	s_mul_hi_u32 s6, s24, s2
	s_mul_i32 s3, s24, s3
	v_mad_u64_u32 v[13:14], null, s5, s15, v[0:1]
	s_mul_hi_u32 s4, s4, s5
	s_add_i32 s3, s6, s3
	s_mul_i32 s4, s4, s2
	s_mul_i32 s2, s24, s2
	s_add_i32 s3, s3, s4
	s_mov_b32 s4, exec_lo
	s_lshl_b64 s[2:3], s[2:3], 2
	s_delay_alu instid0(SALU_CYCLE_1)
	v_cmpx_gt_i64_e64 s[2:3], v[13:14]
	s_cbranch_execz .LBB31_78
; %bb.6:
	s_load_b128 s[12:15], s[0:1], 0x138
	v_alignbit_b32 v24, v3, v2, 2
	s_waitcnt vmcnt(0)
	v_dual_mov_b32 v38, v12 :: v_dual_add_nc_u32 v19, 0x96a522ad, v12
	v_add_co_u32 v23, null, 0x9e3779b9, v11
	s_load_b256 s[4:11], s[0:1], 0x30
	s_waitcnt lgkmcnt(0)
	s_mov_b32 s11, 0x3e9b6dac
	v_add_co_u32 v26, null, 0x3c6ef372, v11
	v_add_co_u32 v32, null, 0x76cf5d0a, v38
	;; [unrolled: 1-line block ×6, first 2 shown]
	v_cvt_f32_f64_e32 v9, s[14:15]
	v_add_co_u32 v28, null, 0xb54cda56, v11
	v_add_co_u32 v33, null, 0xdb3d7428, v38
	;; [unrolled: 1-line block ×3, first 2 shown]
	s_add_u32 s18, s0, 48
	v_add_co_u32 v30, null, 0xf1bbcdc8, v11
	s_addc_u32 s19, s1, 0
	s_add_i32 s20, s4, -1
	s_load_b64 s[14:15], s[0:1], 0xf4
	s_cmp_gt_u32 s20, 1
	s_mov_b32 s26, 0
	s_mul_i32 s33, s24, 3
	v_add_nc_u32_e32 v18, 0x8ff34781, v11
	v_sub_f32_e32 v4, 1.0, v9
	s_delay_alu instid0(VALU_DEP_1) | instskip(NEXT) | instid1(VALU_DEP_1)
	v_cvt_f64_f32_e32 v[0:1], v4
	v_frexp_exp_i32_f64_e32 v0, v[0:1]
	v_frexp_mant_f32_e32 v1, v4
	s_delay_alu instid0(VALU_DEP_1) | instskip(NEXT) | instid1(VALU_DEP_3)
	v_cmp_gt_f32_e32 vcc_lo, 0x3f2aaaab, v1
	v_subrev_co_ci_u32_e32 v8, vcc_lo, 0, v0, vcc_lo
	v_add_f32_e32 v0, -1.0, v4
	v_cmp_eq_f32_e32 vcc_lo, 0xff800000, v9
	s_delay_alu instid0(VALU_DEP_3) | instskip(SKIP_1) | instid1(VALU_DEP_4)
	v_sub_nc_u32_e32 v1, 0, v8
	v_cvt_f32_i32_e32 v8, v8
	v_sub_f32_e32 v5, v0, v4
	s_delay_alu instid0(VALU_DEP_3) | instskip(NEXT) | instid1(VALU_DEP_2)
	v_ldexp_f32 v4, v4, v1
	v_add_f32_e32 v5, 1.0, v5
	v_sub_f32_e64 v0, -v9, v0
	s_delay_alu instid0(VALU_DEP_3) | instskip(NEXT) | instid1(VALU_DEP_1)
	v_add_f32_e32 v6, 1.0, v4
	v_dual_add_f32 v0, v0, v5 :: v_dual_add_f32 v5, -1.0, v6
	s_delay_alu instid0(VALU_DEP_1) | instskip(SKIP_1) | instid1(VALU_DEP_3)
	v_ldexp_f32 v0, v0, v1
	v_add_f32_e32 v1, -1.0, v4
	v_sub_f32_e32 v5, v4, v5
	s_delay_alu instid0(VALU_DEP_2) | instskip(NEXT) | instid1(VALU_DEP_2)
	v_add_f32_e32 v7, 1.0, v1
	v_add_f32_e32 v5, v0, v5
	s_delay_alu instid0(VALU_DEP_2) | instskip(NEXT) | instid1(VALU_DEP_1)
	v_sub_f32_e32 v4, v4, v7
	v_add_f32_e32 v0, v0, v4
	s_delay_alu instid0(VALU_DEP_1) | instskip(NEXT) | instid1(VALU_DEP_1)
	v_dual_add_f32 v4, v1, v0 :: v_dual_add_f32 v7, v6, v5
	v_sub_f32_e32 v1, v4, v1
	s_delay_alu instid0(VALU_DEP_2) | instskip(SKIP_1) | instid1(VALU_DEP_1)
	v_rcp_f32_e32 v10, v7
	v_sub_f32_e32 v6, v7, v6
	v_dual_sub_f32 v0, v0, v1 :: v_dual_sub_f32 v5, v5, v6
	s_waitcnt_depctr 0xfff
	v_mul_f32_e32 v15, v4, v10
	s_delay_alu instid0(VALU_DEP_1) | instskip(NEXT) | instid1(VALU_DEP_1)
	v_mul_f32_e32 v16, v7, v15
	v_fma_f32 v6, v15, v7, -v16
	s_delay_alu instid0(VALU_DEP_1) | instskip(NEXT) | instid1(VALU_DEP_1)
	v_fmac_f32_e32 v6, v15, v5
	v_add_f32_e32 v17, v16, v6
	s_delay_alu instid0(VALU_DEP_1) | instskip(NEXT) | instid1(VALU_DEP_1)
	v_sub_f32_e32 v25, v4, v17
	v_dual_sub_f32 v1, v17, v16 :: v_dual_sub_f32 v4, v4, v25
	s_delay_alu instid0(VALU_DEP_1) | instskip(NEXT) | instid1(VALU_DEP_1)
	v_dual_sub_f32 v1, v1, v6 :: v_dual_sub_f32 v4, v4, v17
	v_dual_add_f32 v0, v0, v4 :: v_dual_and_b32 v17, 3, v2
	s_delay_alu instid0(VALU_DEP_1) | instskip(SKIP_1) | instid1(VALU_DEP_2)
	v_add_f32_e32 v4, v1, v0
	v_mad_u64_u32 v[0:1], null, 0xcd9e8d57, v13, 0
	v_add_f32_e32 v6, v25, v4
	s_delay_alu instid0(VALU_DEP_1) | instskip(SKIP_2) | instid1(VALU_DEP_3)
	v_mul_f32_e32 v16, v10, v6
	v_sub_f32_e32 v2, v25, v6
	v_lshrrev_b32_e32 v25, 2, v3
	v_mul_f32_e32 v27, v7, v16
	v_add_f32_e32 v36, v15, v16
	s_delay_alu instid0(VALU_DEP_3) | instskip(SKIP_1) | instid1(VALU_DEP_4)
	v_xor3_b32 v1, v11, v1, v25
	v_add_f32_e32 v4, v4, v2
	v_fma_f32 v7, v16, v7, -v27
	s_delay_alu instid0(VALU_DEP_1) | instskip(NEXT) | instid1(VALU_DEP_1)
	v_fmac_f32_e32 v7, v16, v5
	v_add_f32_e32 v5, v27, v7
	s_delay_alu instid0(VALU_DEP_1) | instskip(NEXT) | instid1(VALU_DEP_1)
	v_sub_f32_e32 v29, v6, v5
	v_dual_sub_f32 v3, v6, v29 :: v_dual_sub_f32 v6, v5, v27
	v_add_co_u32 v27, null, 0x78dde6e4, v11
	s_delay_alu instid0(VALU_DEP_2) | instskip(SKIP_2) | instid1(VALU_DEP_3)
	v_dual_sub_f32 v5, v3, v5 :: v_dual_sub_f32 v6, v6, v7
	v_mad_u64_u32 v[2:3], null, 0xd2511f53, v24, 0
	v_sub_f32_e32 v7, v36, v15
	v_add_f32_e32 v4, v4, v5
	s_delay_alu instid0(VALU_DEP_3) | instskip(NEXT) | instid1(VALU_DEP_2)
	v_xor_b32_e32 v5, v3, v12
	v_add_f32_e32 v6, v6, v4
	v_mad_u64_u32 v[3:4], null, 0xd2511f53, v1, 0
	s_delay_alu instid0(VALU_DEP_3) | instskip(NEXT) | instid1(VALU_DEP_3)
	v_xor_b32_e32 v1, v5, v14
	v_add_f32_e32 v15, v29, v6
	v_add_co_u32 v29, null, 0xbb67ae85, v38
	s_delay_alu instid0(VALU_DEP_3) | instskip(SKIP_1) | instid1(VALU_DEP_4)
	v_mad_u64_u32 v[5:6], null, 0xcd9e8d57, v1, 0
	v_sub_f32_e32 v1, v16, v7
	v_mul_f32_e32 v7, v10, v15
	s_delay_alu instid0(VALU_DEP_4) | instskip(NEXT) | instid1(VALU_DEP_4)
	v_xor3_b32 v4, v29, v4, v2
	v_xor3_b32 v0, v23, v6, v0
	s_delay_alu instid0(VALU_DEP_3) | instskip(NEXT) | instid1(VALU_DEP_3)
	v_add_f32_e32 v10, v1, v7
	v_mad_u64_u32 v[1:2], null, 0xcd9e8d57, v4, 0
	s_delay_alu instid0(VALU_DEP_3) | instskip(NEXT) | instid1(VALU_DEP_3)
	v_mad_u64_u32 v[6:7], null, 0xd2511f53, v0, 0
	v_add_f32_e32 v15, v36, v10
	v_mov_b32_e32 v31, v13
	s_delay_alu instid0(VALU_DEP_4) | instskip(NEXT) | instid1(VALU_DEP_3)
	v_xor3_b32 v2, v26, v2, v5
	v_mul_f32_e32 v0, v15, v15
	v_xor3_b32 v7, v32, v7, v3
	s_delay_alu instid0(VALU_DEP_3) | instskip(NEXT) | instid1(VALU_DEP_3)
	v_mad_u64_u32 v[4:5], null, 0xd2511f53, v2, 0
	v_fmaak_f32 v16, s11, v0, 0x3ecc95a3
	s_delay_alu instid0(VALU_DEP_3) | instskip(SKIP_2) | instid1(VALU_DEP_3)
	v_mad_u64_u32 v[2:3], null, 0xcd9e8d57, v7, 0
	v_mul_f32_e32 v35, v15, v0
	s_cselect_b32 s11, -1, 0
	v_fmaak_f32 v0, v0, v16, 0x3f2aaada
	s_cmp_lg_u32 s4, 0
	s_cselect_b32 s27, -1, 0
	s_delay_alu instid0(VALU_DEP_3) | instskip(NEXT) | instid1(VALU_DEP_2)
	v_xor3_b32 v3, v22, v3, v1
	v_mul_f32_e32 v16, v35, v0
	v_xor3_b32 v0, v34, v5, v6
	v_mul_f32_e32 v40, 0x3f317218, v8
	v_ldexp_f32 v7, v15, 1
	v_add_co_u32 v35, null, 0x646e171e, v38
	s_delay_alu instid0(VALU_DEP_4)
	v_mad_u64_u32 v[5:6], null, 0xcd9e8d57, v0, 0
	v_mad_u64_u32 v[0:1], null, 0xd2511f53, v3, 0
	v_fma_f32 v3, 0x3f317218, v8, -v40
	v_sub_f32_e32 v15, v15, v36
	v_add_co_u32 v36, null, 0xed9eba14, v38
	v_xor3_b32 v6, v27, v6, v2
	s_delay_alu instid0(VALU_DEP_4) | instskip(NEXT) | instid1(VALU_DEP_4)
	v_dual_fmamk_f32 v8, v8, 0xb102e308, v3 :: v_dual_add_f32 v39, v7, v16
	v_sub_f32_e32 v10, v10, v15
	s_delay_alu instid0(VALU_DEP_4) | instskip(NEXT) | instid1(VALU_DEP_4)
	v_xor3_b32 v1, v36, v1, v4
	v_mad_u64_u32 v[2:3], null, 0xd2511f53, v6, 0
	s_delay_alu instid0(VALU_DEP_4) | instskip(NEXT) | instid1(VALU_DEP_4)
	v_sub_f32_e32 v7, v39, v7
	v_ldexp_f32 v10, v10, 1
	v_add_co_u32 v38, null, 0x1fd5c5a3, v38
	s_add_u32 s0, s0, 0xf4
	s_delay_alu instid0(VALU_DEP_3)
	v_sub_f32_e32 v7, v16, v7
	v_add_f32_e32 v15, v40, v8
	v_xor3_b32 v3, v37, v3, v0
	s_addc_u32 s1, s1, 0
	s_min_u32 s21, s20, 15
	v_add_f32_e32 v10, v10, v7
	v_mad_u64_u32 v[6:7], null, 0xcd9e8d57, v1, 0
	v_mad_u64_u32 v[0:1], null, 0xcd9e8d57, v3, 0
	s_cmp_gt_u32 s4, 1
	s_cselect_b32 s4, -1, 0
	s_add_i32 s21, s21, 1
	s_delay_alu instid0(VALU_DEP_2) | instskip(SKIP_2) | instid1(VALU_DEP_4)
	v_xor3_b32 v5, v21, v7, v5
	v_sub_f32_e32 v7, v15, v40
	v_add_f32_e32 v16, v39, v10
	v_xor3_b32 v6, v28, v1, v6
	s_lshl_b32 s28, s24, 1
	v_mad_u64_u32 v[3:4], null, 0xd2511f53, v5, 0
	v_sub_f32_e32 v7, v8, v7
	v_sub_f32_e32 v39, v16, v39
	v_add_f32_e32 v41, v15, v16
	s_and_b32 s29, s21, 3
	s_cmp_lg_u32 s20, 2
	v_cmp_gt_f32_e64 s20, 0x33800000, |v9|
	v_sub_f32_e32 v8, v10, v39
	v_sub_f32_e32 v42, v41, v15
	s_cselect_b32 s30, -1, 0
	s_and_b32 s31, s21, 28
	s_cmp_lg_u32 s29, 0
	s_delay_alu instid0(VALU_DEP_1) | instskip(SKIP_1) | instid1(VALU_DEP_1)
	v_sub_f32_e32 v40, v41, v42
	s_cselect_b32 s34, -1, 0
	v_sub_f32_e32 v10, v15, v40
	v_add_f32_e32 v15, v7, v8
	v_dual_sub_f32 v5, v16, v42 :: v_dual_mov_b32 v40, v14
	s_delay_alu instid0(VALU_DEP_1) | instskip(SKIP_2) | instid1(VALU_DEP_3)
	v_dual_sub_f32 v16, v15, v7 :: v_dual_add_f32 v5, v5, v10
	v_xor3_b32 v10, v35, v4, v2
	v_mad_u64_u32 v[1:2], null, 0xd2511f53, v6, 0
	v_sub_f32_e32 v6, v15, v16
	s_delay_alu instid0(VALU_DEP_4) | instskip(NEXT) | instid1(VALU_DEP_4)
	v_dual_add_f32 v39, v15, v5 :: v_dual_sub_f32 v8, v8, v16
	v_mad_u64_u32 v[4:5], null, 0xcd9e8d57, v10, 0
	s_delay_alu instid0(VALU_DEP_3) | instskip(NEXT) | instid1(VALU_DEP_3)
	v_sub_f32_e32 v6, v7, v6
	v_add_f32_e32 v10, v41, v39
	v_xor3_b32 v2, v38, v2, v3
	s_delay_alu instid0(VALU_DEP_3) | instskip(NEXT) | instid1(VALU_DEP_3)
	v_add_f32_e32 v3, v8, v6
	v_sub_f32_e32 v7, v10, v41
	v_xor3_b32 v0, v20, v5, v0
	s_delay_alu instid0(VALU_DEP_4) | instskip(NEXT) | instid1(VALU_DEP_3)
	v_mad_u64_u32 v[5:6], null, 0xcd9e8d57, v2, 0
	v_sub_f32_e32 v15, v39, v7
	s_delay_alu instid0(VALU_DEP_3) | instskip(NEXT) | instid1(VALU_DEP_2)
	v_mad_u64_u32 v[7:8], null, 0xd2511f53, v0, 0
	v_add_f32_e32 v0, v3, v15
	s_delay_alu instid0(VALU_DEP_4) | instskip(NEXT) | instid1(VALU_DEP_3)
	v_xor3_b32 v2, v30, v6, v4
	v_xor3_b32 v6, v33, v8, v1
	s_delay_alu instid0(VALU_DEP_3) | instskip(NEXT) | instid1(VALU_DEP_3)
	v_add_f32_e32 v0, v10, v0
	v_mad_u64_u32 v[3:4], null, 0xd2511f53, v2, 0
	s_delay_alu instid0(VALU_DEP_3) | instskip(NEXT) | instid1(VALU_DEP_3)
	v_mad_u64_u32 v[1:2], null, 0xcd9e8d57, v6, 0
	v_cndmask_b32_e64 v0, v0, -v9, vcc_lo
	v_cmp_nlt_f32_e32 vcc_lo, 1.0, v9
	s_delay_alu instid0(VALU_DEP_2) | instskip(SKIP_1) | instid1(VALU_DEP_2)
	v_cndmask_b32_e32 v0, 0x7fc00000, v0, vcc_lo
	v_cmp_neq_f32_e32 vcc_lo, 1.0, v9
	v_cndmask_b32_e32 v6, 0xff800000, v0, vcc_lo
	v_xor3_b32 v0, v2, v5, v18
	v_xor3_b32 v2, v4, v7, v19
	s_delay_alu instid0(VALU_DEP_3)
	v_cndmask_b32_e64 v39, v6, -v9, s20
	s_branch .LBB31_9
.LBB31_7:                               ;   in Loop: Header=BB31_9 Depth=1
	v_cvt_f32_u32_e32 v0, v3
	s_delay_alu instid0(VALU_DEP_1) | instskip(NEXT) | instid1(VALU_DEP_1)
	v_fmaak_f32 v0, 0x2f800000, v0, 0x2f800000
	v_cmp_gt_f32_e32 vcc_lo, 0x800000, v0
	v_cndmask_b32_e64 v2, 1.0, 0x4f800000, vcc_lo
	s_delay_alu instid0(VALU_DEP_1) | instskip(NEXT) | instid1(VALU_DEP_1)
	v_mul_f32_e32 v0, v0, v2
	v_log_f32_e32 v0, v0
	s_waitcnt_depctr 0xfff
	v_mul_f32_e32 v2, 0x3f317217, v0
	s_delay_alu instid0(VALU_DEP_1) | instskip(NEXT) | instid1(VALU_DEP_1)
	v_fma_f32 v3, 0x3f317217, v0, -v2
	v_fmac_f32_e32 v3, 0x3377d1cf, v0
	s_delay_alu instid0(VALU_DEP_1) | instskip(SKIP_2) | instid1(VALU_DEP_3)
	v_add_f32_e32 v2, v2, v3
	v_cndmask_b32_e64 v3, 0, 0x41b17218, vcc_lo
	v_cmp_gt_f32_e64 vcc_lo, 0x7f800000, |v0|
	v_cndmask_b32_e32 v0, v0, v2, vcc_lo
	s_delay_alu instid0(VALU_DEP_1) | instskip(NEXT) | instid1(VALU_DEP_1)
	v_sub_f32_e32 v0, v0, v3
	v_div_scale_f32 v2, null, v39, v39, v0
	s_delay_alu instid0(VALU_DEP_1) | instskip(SKIP_2) | instid1(VALU_DEP_1)
	v_rcp_f32_e32 v3, v2
	s_waitcnt_depctr 0xfff
	v_fma_f32 v7, -v2, v3, 1.0
	v_fmac_f32_e32 v3, v7, v3
	v_div_scale_f32 v7, vcc_lo, v0, v39, v0
	s_delay_alu instid0(VALU_DEP_1) | instskip(NEXT) | instid1(VALU_DEP_1)
	v_mul_f32_e32 v8, v7, v3
	v_fma_f32 v9, -v2, v8, v7
	s_delay_alu instid0(VALU_DEP_1) | instskip(NEXT) | instid1(VALU_DEP_1)
	v_fmac_f32_e32 v8, v9, v3
	v_fma_f32 v2, -v2, v8, v7
	s_delay_alu instid0(VALU_DEP_1) | instskip(NEXT) | instid1(VALU_DEP_1)
	v_div_fmas_f32 v2, v2, v3, v8
	v_div_fixup_f32 v0, v2, v39, v0
	s_delay_alu instid0(VALU_DEP_1) | instskip(NEXT) | instid1(VALU_DEP_1)
	v_ceil_f32_e32 v0, v0
	v_cvt_f16_f32_e32 v0, v0
	global_store_b16 v1, v0, s[12:13]
.LBB31_8:                               ;   in Loop: Header=BB31_9 Depth=1
	s_or_b32 exec_lo, exec_lo, s35
	v_add_co_u32 v13, vcc_lo, v13, s25
	v_add_co_ci_u32_e32 v14, vcc_lo, 0, v14, vcc_lo
	v_mov_b32_e32 v7, v15
	v_dual_mov_b32 v0, v4 :: v_dual_mov_b32 v1, v5
	s_delay_alu instid0(VALU_DEP_3) | instskip(NEXT) | instid1(VALU_DEP_3)
	v_cmp_le_i64_e32 vcc_lo, s[2:3], v[13:14]
	v_dual_mov_b32 v2, v6 :: v_dual_mov_b32 v3, v7
	s_waitcnt lgkmcnt(0)
	s_waitcnt_vscnt null, 0x0
	s_barrier
	buffer_gl0_inv
	s_or_b32 s26, vcc_lo, s26
	s_delay_alu instid0(SALU_CYCLE_1)
	s_and_not1_b32 exec_lo, exec_lo, s26
	s_cbranch_execz .LBB31_78
.LBB31_9:                               ; =>This Loop Header: Depth=1
                                        ;     Child Loop BB31_24 Depth 2
                                        ;     Child Loop BB31_29 Depth 2
	;; [unrolled: 1-line block ×8, first 2 shown]
	v_add_co_u32 v24, vcc_lo, v24, 1
	s_delay_alu instid0(VALU_DEP_1) | instskip(SKIP_2) | instid1(VALU_DEP_1)
	v_cndmask_b32_e64 v4, 0, 1, vcc_lo
	v_add_co_ci_u32_e32 v25, vcc_lo, 0, v25, vcc_lo
	s_mov_b32 s20, exec_lo
	v_cmp_eq_u32_e32 vcc_lo, 0, v25
	s_delay_alu instid0(VALU_DEP_3) | instskip(NEXT) | instid1(VALU_DEP_1)
	v_cndmask_b32_e32 v4, 0, v4, vcc_lo
	v_add_nc_u32_e32 v31, v4, v31
	s_delay_alu instid0(VALU_DEP_1) | instskip(SKIP_2) | instid1(VALU_DEP_2)
	v_cmp_eq_u32_e32 vcc_lo, 0, v31
	v_cndmask_b32_e32 v4, 0, v4, vcc_lo
	v_mad_u64_u32 v[6:7], null, 0xcd9e8d57, v31, 0
	v_add_nc_u32_e32 v40, v4, v40
	v_mad_u64_u32 v[4:5], null, 0xd2511f53, v24, 0
	s_delay_alu instid0(VALU_DEP_3) | instskip(NEXT) | instid1(VALU_DEP_2)
	v_xor3_b32 v9, v7, v11, v25
	v_xor_b32_e32 v5, v5, v12
	s_delay_alu instid0(VALU_DEP_2) | instskip(NEXT) | instid1(VALU_DEP_2)
	v_mad_u64_u32 v[7:8], null, 0xd2511f53, v9, 0
	v_xor_b32_e32 v5, v40, v5
	s_delay_alu instid0(VALU_DEP_2) | instskip(NEXT) | instid1(VALU_DEP_2)
	v_xor3_b32 v8, v29, v8, v4
	v_mad_u64_u32 v[9:10], null, 0xcd9e8d57, v5, 0
	s_delay_alu instid0(VALU_DEP_2) | instskip(NEXT) | instid1(VALU_DEP_2)
	v_mad_u64_u32 v[4:5], null, 0xcd9e8d57, v8, 0
	v_xor3_b32 v6, v23, v10, v6
	s_delay_alu instid0(VALU_DEP_2) | instskip(NEXT) | instid1(VALU_DEP_2)
	v_xor3_b32 v8, v26, v5, v9
	v_mad_u64_u32 v[15:16], null, 0xd2511f53, v6, 0
	s_delay_alu instid0(VALU_DEP_2) | instskip(NEXT) | instid1(VALU_DEP_2)
	v_mad_u64_u32 v[5:6], null, 0xd2511f53, v8, 0
	v_xor3_b32 v9, v32, v16, v7
	s_delay_alu instid0(VALU_DEP_2) | instskip(NEXT) | instid1(VALU_DEP_2)
	v_xor3_b32 v6, v34, v6, v15
	v_mad_u64_u32 v[7:8], null, 0xcd9e8d57, v9, 0
	s_delay_alu instid0(VALU_DEP_1) | instskip(NEXT) | instid1(VALU_DEP_3)
	v_xor3_b32 v4, v22, v8, v4
	v_mad_u64_u32 v[8:9], null, 0xcd9e8d57, v6, 0
	s_delay_alu instid0(VALU_DEP_2) | instskip(NEXT) | instid1(VALU_DEP_2)
	v_mad_u64_u32 v[15:16], null, 0xd2511f53, v4, 0
	v_xor3_b32 v6, v27, v9, v7
	s_delay_alu instid0(VALU_DEP_2) | instskip(NEXT) | instid1(VALU_DEP_2)
	v_xor3_b32 v9, v36, v16, v5
	v_mad_u64_u32 v[4:5], null, 0xd2511f53, v6, 0
	s_delay_alu instid0(VALU_DEP_2) | instskip(NEXT) | instid1(VALU_DEP_2)
	v_mad_u64_u32 v[6:7], null, 0xcd9e8d57, v9, 0
	v_xor3_b32 v5, v37, v5, v15
	s_delay_alu instid0(VALU_DEP_2) | instskip(NEXT) | instid1(VALU_DEP_2)
	;; [unrolled: 6-line block ×6, first 2 shown]
	v_xor3_b32 v4, v6, v7, v18
	v_mov_b32_e32 v6, v10
	v_cmpx_lt_i32_e32 1, v17
	s_xor_b32 s20, exec_lo, s20
	s_cbranch_execnz .LBB31_12
; %bb.10:                               ;   in Loop: Header=BB31_9 Depth=1
	s_and_not1_saveexec_b32 s20, s20
	s_cbranch_execnz .LBB31_17
.LBB31_11:                              ;   in Loop: Header=BB31_9 Depth=1
	s_or_b32 exec_lo, exec_lo, s20
	s_delay_alu instid0(SALU_CYCLE_1)
	s_mov_b32 s35, exec_lo
	v_cmpx_gt_i64_e64 s[16:17], v[13:14]
	s_cbranch_execnz .LBB31_20
	s_branch .LBB31_34
.LBB31_12:                              ;   in Loop: Header=BB31_9 Depth=1
	s_mov_b32 s21, exec_lo
	v_cmpx_lt_i32_e32 2, v17
	s_xor_b32 s21, exec_lo, s21
; %bb.13:                               ;   in Loop: Header=BB31_9 Depth=1
	v_dual_mov_b32 v7, v3 :: v_dual_mov_b32 v8, v4
	v_mov_b32_e32 v9, v5
	s_delay_alu instid0(VALU_DEP_2) | instskip(NEXT) | instid1(VALU_DEP_2)
	v_dual_mov_b32 v0, v7 :: v_dual_mov_b32 v1, v8
	v_dual_mov_b32 v2, v9 :: v_dual_mov_b32 v3, v10
; %bb.14:                               ;   in Loop: Header=BB31_9 Depth=1
	s_and_not1_saveexec_b32 s21, s21
; %bb.15:                               ;   in Loop: Header=BB31_9 Depth=1
	s_delay_alu instid0(VALU_DEP_1)
	v_dual_mov_b32 v0, v2 :: v_dual_mov_b32 v1, v3
	v_dual_mov_b32 v2, v4 :: v_dual_mov_b32 v3, v5
; %bb.16:                               ;   in Loop: Header=BB31_9 Depth=1
	s_or_b32 exec_lo, exec_lo, s21
	s_and_not1_saveexec_b32 s20, s20
	s_cbranch_execz .LBB31_11
.LBB31_17:                              ;   in Loop: Header=BB31_9 Depth=1
	s_mov_b32 s21, exec_lo
	v_cmpx_eq_u32_e32 1, v17
; %bb.18:                               ;   in Loop: Header=BB31_9 Depth=1
	v_dual_mov_b32 v0, v1 :: v_dual_mov_b32 v1, v2
	v_dual_mov_b32 v2, v3 :: v_dual_mov_b32 v3, v4
; %bb.19:                               ;   in Loop: Header=BB31_9 Depth=1
	s_or_b32 exec_lo, exec_lo, s21
	s_delay_alu instid0(SALU_CYCLE_1) | instskip(NEXT) | instid1(SALU_CYCLE_1)
	s_or_b32 exec_lo, exec_lo, s20
	s_mov_b32 s35, exec_lo
	v_cmpx_gt_i64_e64 s[16:17], v[13:14]
	s_cbranch_execz .LBB31_34
.LBB31_20:                              ;   in Loop: Header=BB31_9 Depth=1
	s_and_not1_b32 vcc_lo, exec_lo, s11
	s_cbranch_vccnz .LBB31_26
; %bb.21:                               ;   in Loop: Header=BB31_9 Depth=1
	v_mov_b32_e32 v7, 0
	s_and_not1_b32 vcc_lo, exec_lo, s27
	s_cbranch_vccnz .LBB31_30
; %bb.22:                               ;   in Loop: Header=BB31_9 Depth=1
	s_and_not1_b32 vcc_lo, exec_lo, s30
	s_mov_b32 s20, 0
	s_cbranch_vccnz .LBB31_27
; %bb.23:                               ;   in Loop: Header=BB31_9 Depth=1
	v_dual_mov_b32 v7, 0 :: v_dual_mov_b32 v8, v13
	s_mov_b32 s36, 0
	s_mov_b64 s[20:21], s[18:19]
	s_mov_b64 s[22:23], s[0:1]
.LBB31_24:                              ;   Parent Loop BB31_9 Depth=1
                                        ; =>  This Inner Loop Header: Depth=2
	s_clause 0x1
	s_load_b256 s[40:47], s[20:21], 0x4
	s_load_b128 s[48:51], s[20:21], 0x24
	s_load_b128 s[52:55], s[22:23], 0x0
	s_add_u32 s20, s20, 48
	s_addc_u32 s21, s21, 0
	s_add_i32 s36, s36, 4
	s_add_u32 s22, s22, 16
	s_addc_u32 s23, s23, 0
	s_cmp_lg_u32 s31, s36
	s_waitcnt lgkmcnt(0)
	v_mul_hi_u32 v9, s41, v8
	s_delay_alu instid0(VALU_DEP_1) | instskip(NEXT) | instid1(VALU_DEP_1)
	v_add_nc_u32_e32 v9, v8, v9
	v_lshrrev_b32_e32 v9, s42, v9
	s_delay_alu instid0(VALU_DEP_1) | instskip(SKIP_1) | instid1(VALU_DEP_2)
	v_mul_hi_u32 v10, s44, v9
	v_mul_lo_u32 v42, v9, s40
	v_add_nc_u32_e32 v10, v9, v10
	s_delay_alu instid0(VALU_DEP_2) | instskip(NEXT) | instid1(VALU_DEP_2)
	v_sub_nc_u32_e32 v42, v8, v42
	v_lshrrev_b32_e32 v10, s45, v10
	s_delay_alu instid0(VALU_DEP_2) | instskip(NEXT) | instid1(VALU_DEP_2)
	v_mul_lo_u32 v42, v42, s52
	v_mul_hi_u32 v16, s47, v10
	v_mul_lo_u32 v43, v10, s43
	s_delay_alu instid0(VALU_DEP_2) | instskip(NEXT) | instid1(VALU_DEP_2)
	v_add_nc_u32_e32 v16, v10, v16
	v_sub_nc_u32_e32 v9, v9, v43
	s_delay_alu instid0(VALU_DEP_2) | instskip(NEXT) | instid1(VALU_DEP_2)
	v_lshrrev_b32_e32 v16, s48, v16
	v_mul_lo_u32 v9, v9, s53
	s_delay_alu instid0(VALU_DEP_2) | instskip(NEXT) | instid1(VALU_DEP_2)
	v_mul_hi_u32 v41, s50, v16
	v_add3_u32 v7, v42, v7, v9
	s_delay_alu instid0(VALU_DEP_2) | instskip(NEXT) | instid1(VALU_DEP_1)
	v_add_nc_u32_e32 v41, v16, v41
	v_lshrrev_b32_e32 v8, s51, v41
	v_mul_lo_u32 v41, v16, s46
	s_delay_alu instid0(VALU_DEP_2) | instskip(NEXT) | instid1(VALU_DEP_2)
	v_mul_lo_u32 v44, v8, s49
	v_sub_nc_u32_e32 v10, v10, v41
	s_delay_alu instid0(VALU_DEP_2) | instskip(NEXT) | instid1(VALU_DEP_2)
	v_sub_nc_u32_e32 v16, v16, v44
	v_mul_lo_u32 v10, v10, s54
	s_delay_alu instid0(VALU_DEP_2) | instskip(NEXT) | instid1(VALU_DEP_1)
	v_mul_lo_u32 v16, v16, s55
	v_add3_u32 v7, v10, v7, v16
	s_cbranch_scc1 .LBB31_24
; %bb.25:                               ;   in Loop: Header=BB31_9 Depth=1
	s_mov_b32 s20, s31
	s_and_not1_b32 vcc_lo, exec_lo, s34
	s_cbranch_vccz .LBB31_28
	s_branch .LBB31_30
.LBB31_26:                              ;   in Loop: Header=BB31_9 Depth=1
                                        ; implicit-def: $vgpr7
	s_branch .LBB31_31
.LBB31_27:                              ;   in Loop: Header=BB31_9 Depth=1
	v_mov_b32_e32 v8, v13
	s_and_not1_b32 vcc_lo, exec_lo, s34
	s_cbranch_vccnz .LBB31_30
.LBB31_28:                              ;   in Loop: Header=BB31_9 Depth=1
	s_lshl_b32 s21, s20, 2
	s_mul_i32 s22, s20, 12
	s_add_u32 s20, s0, s21
	s_addc_u32 s21, s1, 0
	s_add_u32 s22, s18, s22
	s_addc_u32 s23, s19, 0
	s_mov_b32 s36, s29
	.p2align	6
.LBB31_29:                              ;   Parent Loop BB31_9 Depth=1
                                        ; =>  This Inner Loop Header: Depth=2
	s_clause 0x1
	s_load_b64 s[38:39], s[22:23], 0x4
	s_load_b32 s37, s[22:23], 0xc
	s_add_u32 s22, s22, 12
	s_addc_u32 s23, s23, 0
	s_waitcnt lgkmcnt(0)
	v_mul_hi_u32 v9, s39, v8
	s_load_b32 s39, s[20:21], 0x0
	s_add_u32 s20, s20, 4
	s_addc_u32 s21, s21, 0
	s_add_i32 s36, s36, -1
	s_delay_alu instid0(SALU_CYCLE_1) | instskip(NEXT) | instid1(VALU_DEP_1)
	s_cmp_lg_u32 s36, 0
	v_add_nc_u32_e32 v9, v8, v9
	s_delay_alu instid0(VALU_DEP_1) | instskip(NEXT) | instid1(VALU_DEP_1)
	v_lshrrev_b32_e32 v16, s37, v9
	v_mul_lo_u32 v9, v16, s38
	s_delay_alu instid0(VALU_DEP_1) | instskip(SKIP_1) | instid1(VALU_DEP_1)
	v_sub_nc_u32_e32 v8, v8, v9
	s_waitcnt lgkmcnt(0)
	v_mad_u64_u32 v[9:10], null, v8, s39, v[7:8]
	s_delay_alu instid0(VALU_DEP_1)
	v_dual_mov_b32 v8, v16 :: v_dual_mov_b32 v7, v9
	s_cbranch_scc1 .LBB31_29
.LBB31_30:                              ;   in Loop: Header=BB31_9 Depth=1
	s_cbranch_execnz .LBB31_33
.LBB31_31:                              ;   in Loop: Header=BB31_9 Depth=1
	v_mul_hi_u32 v7, v13, s6
	s_and_not1_b32 vcc_lo, exec_lo, s4
	s_delay_alu instid0(VALU_DEP_1) | instskip(NEXT) | instid1(VALU_DEP_1)
	v_add_nc_u32_e32 v7, v7, v13
	v_lshrrev_b32_e32 v8, s7, v7
	s_delay_alu instid0(VALU_DEP_1) | instskip(NEXT) | instid1(VALU_DEP_1)
	v_mul_lo_u32 v7, v8, s5
	v_sub_nc_u32_e32 v7, v13, v7
	s_waitcnt lgkmcnt(0)
	s_delay_alu instid0(VALU_DEP_1)
	v_mul_lo_u32 v7, v7, s14
	s_cbranch_vccnz .LBB31_33
; %bb.32:                               ;   in Loop: Header=BB31_9 Depth=1
	v_mul_hi_u32 v9, s9, v8
	s_delay_alu instid0(VALU_DEP_1) | instskip(NEXT) | instid1(VALU_DEP_1)
	v_add_nc_u32_e32 v9, v8, v9
	v_lshrrev_b32_e32 v9, s10, v9
	s_delay_alu instid0(VALU_DEP_1) | instskip(NEXT) | instid1(VALU_DEP_1)
	v_mul_lo_u32 v9, v9, s8
	v_sub_nc_u32_e32 v10, v8, v9
	s_delay_alu instid0(VALU_DEP_1) | instskip(NEXT) | instid1(VALU_DEP_1)
	v_mad_u64_u32 v[8:9], null, v10, s15, v[7:8]
	v_mov_b32_e32 v7, v8
.LBB31_33:                              ;   in Loop: Header=BB31_9 Depth=1
	v_cvt_f32_u32_e32 v0, v0
	s_delay_alu instid0(VALU_DEP_1) | instskip(NEXT) | instid1(VALU_DEP_1)
	v_fmaak_f32 v0, 0x2f800000, v0, 0x2f800000
	v_cmp_gt_f32_e32 vcc_lo, 0x800000, v0
	v_cndmask_b32_e64 v8, 1.0, 0x4f800000, vcc_lo
	s_delay_alu instid0(VALU_DEP_1) | instskip(NEXT) | instid1(VALU_DEP_1)
	v_mul_f32_e32 v0, v0, v8
	v_log_f32_e32 v0, v0
	s_waitcnt_depctr 0xfff
	v_mul_f32_e32 v8, 0x3f317217, v0
	s_delay_alu instid0(VALU_DEP_1) | instskip(NEXT) | instid1(VALU_DEP_1)
	v_fma_f32 v9, 0x3f317217, v0, -v8
	v_fmac_f32_e32 v9, 0x3377d1cf, v0
	s_delay_alu instid0(VALU_DEP_1) | instskip(SKIP_2) | instid1(VALU_DEP_3)
	v_add_f32_e32 v8, v8, v9
	v_cndmask_b32_e64 v9, 0, 0x41b17218, vcc_lo
	v_cmp_gt_f32_e64 vcc_lo, 0x7f800000, |v0|
	v_cndmask_b32_e32 v0, v0, v8, vcc_lo
	s_delay_alu instid0(VALU_DEP_1) | instskip(NEXT) | instid1(VALU_DEP_1)
	v_sub_f32_e32 v0, v0, v9
	v_div_scale_f32 v8, null, v39, v39, v0
	s_delay_alu instid0(VALU_DEP_1) | instskip(SKIP_2) | instid1(VALU_DEP_1)
	v_rcp_f32_e32 v9, v8
	s_waitcnt_depctr 0xfff
	v_fma_f32 v10, -v8, v9, 1.0
	v_fmac_f32_e32 v9, v10, v9
	v_div_scale_f32 v10, vcc_lo, v0, v39, v0
	s_delay_alu instid0(VALU_DEP_1) | instskip(NEXT) | instid1(VALU_DEP_1)
	v_mul_f32_e32 v16, v10, v9
	v_fma_f32 v41, -v8, v16, v10
	s_delay_alu instid0(VALU_DEP_1) | instskip(NEXT) | instid1(VALU_DEP_1)
	v_fmac_f32_e32 v16, v41, v9
	v_fma_f32 v8, -v8, v16, v10
	s_delay_alu instid0(VALU_DEP_1) | instskip(NEXT) | instid1(VALU_DEP_1)
	v_div_fmas_f32 v8, v8, v9, v16
	v_div_fixup_f32 v0, v8, v39, v0
	s_delay_alu instid0(VALU_DEP_1) | instskip(NEXT) | instid1(VALU_DEP_1)
	v_ceil_f32_e32 v0, v0
	v_cvt_f16_f32_e32 v0, v0
	global_store_b16 v7, v0, s[12:13]
.LBB31_34:                              ;   in Loop: Header=BB31_9 Depth=1
	s_or_b32 exec_lo, exec_lo, s35
	v_add_co_u32 v7, vcc_lo, v13, s24
	v_add_co_ci_u32_e32 v8, vcc_lo, 0, v14, vcc_lo
	s_mov_b32 s35, exec_lo
	s_delay_alu instid0(VALU_DEP_1)
	v_cmpx_gt_i64_e64 s[16:17], v[7:8]
	s_cbranch_execz .LBB31_49
; %bb.35:                               ;   in Loop: Header=BB31_9 Depth=1
	s_and_not1_b32 vcc_lo, exec_lo, s11
	s_cbranch_vccnz .LBB31_41
; %bb.36:                               ;   in Loop: Header=BB31_9 Depth=1
	v_mov_b32_e32 v0, 0
	s_and_not1_b32 vcc_lo, exec_lo, s27
	s_cbranch_vccnz .LBB31_45
; %bb.37:                               ;   in Loop: Header=BB31_9 Depth=1
	s_and_not1_b32 vcc_lo, exec_lo, s30
	s_mov_b32 s20, 0
	s_cbranch_vccnz .LBB31_42
; %bb.38:                               ;   in Loop: Header=BB31_9 Depth=1
	v_mov_b32_e32 v0, 0
	v_mov_b32_e32 v8, v7
	s_mov_b32 s36, 0
	s_mov_b64 s[20:21], s[18:19]
	s_mov_b64 s[22:23], s[0:1]
.LBB31_39:                              ;   Parent Loop BB31_9 Depth=1
                                        ; =>  This Inner Loop Header: Depth=2
	s_clause 0x1
	s_load_b256 s[40:47], s[20:21], 0x4
	s_load_b128 s[48:51], s[20:21], 0x24
	s_load_b128 s[52:55], s[22:23], 0x0
	s_add_u32 s20, s20, 48
	s_addc_u32 s21, s21, 0
	s_add_i32 s36, s36, 4
	s_add_u32 s22, s22, 16
	s_addc_u32 s23, s23, 0
	s_cmp_eq_u32 s31, s36
	s_waitcnt lgkmcnt(0)
	v_mul_hi_u32 v9, s41, v8
	s_delay_alu instid0(VALU_DEP_1) | instskip(NEXT) | instid1(VALU_DEP_1)
	v_add_nc_u32_e32 v9, v8, v9
	v_lshrrev_b32_e32 v9, s42, v9
	s_delay_alu instid0(VALU_DEP_1) | instskip(SKIP_1) | instid1(VALU_DEP_2)
	v_mul_hi_u32 v10, s44, v9
	v_mul_lo_u32 v42, v9, s40
	v_add_nc_u32_e32 v10, v9, v10
	s_delay_alu instid0(VALU_DEP_2) | instskip(NEXT) | instid1(VALU_DEP_2)
	v_sub_nc_u32_e32 v42, v8, v42
	v_lshrrev_b32_e32 v10, s45, v10
	s_delay_alu instid0(VALU_DEP_2) | instskip(NEXT) | instid1(VALU_DEP_2)
	v_mul_lo_u32 v42, v42, s52
	v_mul_hi_u32 v16, s47, v10
	v_mul_lo_u32 v43, v10, s43
	s_delay_alu instid0(VALU_DEP_2) | instskip(NEXT) | instid1(VALU_DEP_2)
	v_add_nc_u32_e32 v16, v10, v16
	v_sub_nc_u32_e32 v9, v9, v43
	s_delay_alu instid0(VALU_DEP_2) | instskip(NEXT) | instid1(VALU_DEP_2)
	v_lshrrev_b32_e32 v16, s48, v16
	v_mul_lo_u32 v9, v9, s53
	s_delay_alu instid0(VALU_DEP_2) | instskip(NEXT) | instid1(VALU_DEP_2)
	v_mul_hi_u32 v41, s50, v16
	v_add3_u32 v0, v42, v0, v9
	s_delay_alu instid0(VALU_DEP_2) | instskip(NEXT) | instid1(VALU_DEP_1)
	v_add_nc_u32_e32 v41, v16, v41
	v_lshrrev_b32_e32 v8, s51, v41
	v_mul_lo_u32 v41, v16, s46
	s_delay_alu instid0(VALU_DEP_2) | instskip(NEXT) | instid1(VALU_DEP_2)
	v_mul_lo_u32 v44, v8, s49
	v_sub_nc_u32_e32 v10, v10, v41
	s_delay_alu instid0(VALU_DEP_2) | instskip(NEXT) | instid1(VALU_DEP_2)
	v_sub_nc_u32_e32 v16, v16, v44
	v_mul_lo_u32 v10, v10, s54
	s_delay_alu instid0(VALU_DEP_2) | instskip(NEXT) | instid1(VALU_DEP_1)
	v_mul_lo_u32 v16, v16, s55
	v_add3_u32 v0, v10, v0, v16
	s_cbranch_scc0 .LBB31_39
; %bb.40:                               ;   in Loop: Header=BB31_9 Depth=1
	s_mov_b32 s20, s31
	s_and_not1_b32 vcc_lo, exec_lo, s34
	s_cbranch_vccz .LBB31_43
	s_branch .LBB31_45
.LBB31_41:                              ;   in Loop: Header=BB31_9 Depth=1
                                        ; implicit-def: $vgpr0
	s_branch .LBB31_46
.LBB31_42:                              ;   in Loop: Header=BB31_9 Depth=1
	v_mov_b32_e32 v8, v7
	s_and_not1_b32 vcc_lo, exec_lo, s34
	s_cbranch_vccnz .LBB31_45
.LBB31_43:                              ;   in Loop: Header=BB31_9 Depth=1
	s_lshl_b32 s21, s20, 2
	s_mul_i32 s22, s20, 12
	s_add_u32 s20, s0, s21
	s_addc_u32 s21, s1, 0
	s_add_u32 s22, s18, s22
	s_addc_u32 s23, s19, 0
	s_mov_b32 s36, s29
	.p2align	6
.LBB31_44:                              ;   Parent Loop BB31_9 Depth=1
                                        ; =>  This Inner Loop Header: Depth=2
	s_clause 0x1
	s_load_b64 s[38:39], s[22:23], 0x4
	s_load_b32 s37, s[22:23], 0xc
	s_add_u32 s22, s22, 12
	s_addc_u32 s23, s23, 0
	s_waitcnt lgkmcnt(0)
	v_mul_hi_u32 v9, s39, v8
	s_load_b32 s39, s[20:21], 0x0
	s_add_u32 s20, s20, 4
	s_addc_u32 s21, s21, 0
	s_add_i32 s36, s36, -1
	s_delay_alu instid0(SALU_CYCLE_1) | instskip(NEXT) | instid1(VALU_DEP_1)
	s_cmp_lg_u32 s36, 0
	v_add_nc_u32_e32 v9, v8, v9
	s_delay_alu instid0(VALU_DEP_1) | instskip(NEXT) | instid1(VALU_DEP_1)
	v_lshrrev_b32_e32 v16, s37, v9
	v_mul_lo_u32 v9, v16, s38
	s_delay_alu instid0(VALU_DEP_1) | instskip(SKIP_1) | instid1(VALU_DEP_1)
	v_sub_nc_u32_e32 v8, v8, v9
	s_waitcnt lgkmcnt(0)
	v_mad_u64_u32 v[9:10], null, v8, s39, v[0:1]
	v_mov_b32_e32 v8, v16
	s_delay_alu instid0(VALU_DEP_2)
	v_mov_b32_e32 v0, v9
	s_cbranch_scc1 .LBB31_44
.LBB31_45:                              ;   in Loop: Header=BB31_9 Depth=1
	s_cbranch_execnz .LBB31_48
.LBB31_46:                              ;   in Loop: Header=BB31_9 Depth=1
	v_mul_hi_u32 v0, v7, s6
	s_and_not1_b32 vcc_lo, exec_lo, s4
	s_delay_alu instid0(VALU_DEP_1) | instskip(NEXT) | instid1(VALU_DEP_1)
	v_add_nc_u32_e32 v0, v0, v7
	v_lshrrev_b32_e32 v8, s7, v0
	s_delay_alu instid0(VALU_DEP_1) | instskip(NEXT) | instid1(VALU_DEP_1)
	v_mul_lo_u32 v0, v8, s5
	v_sub_nc_u32_e32 v0, v7, v0
	s_waitcnt lgkmcnt(0)
	s_delay_alu instid0(VALU_DEP_1)
	v_mul_lo_u32 v0, v0, s14
	s_cbranch_vccnz .LBB31_48
; %bb.47:                               ;   in Loop: Header=BB31_9 Depth=1
	v_mul_hi_u32 v7, s9, v8
	s_delay_alu instid0(VALU_DEP_1) | instskip(NEXT) | instid1(VALU_DEP_1)
	v_add_nc_u32_e32 v7, v8, v7
	v_lshrrev_b32_e32 v7, s10, v7
	s_delay_alu instid0(VALU_DEP_1) | instskip(NEXT) | instid1(VALU_DEP_1)
	v_mul_lo_u32 v7, v7, s8
	v_sub_nc_u32_e32 v9, v8, v7
	s_delay_alu instid0(VALU_DEP_1) | instskip(NEXT) | instid1(VALU_DEP_1)
	v_mad_u64_u32 v[7:8], null, v9, s15, v[0:1]
	v_mov_b32_e32 v0, v7
.LBB31_48:                              ;   in Loop: Header=BB31_9 Depth=1
	v_cvt_f32_u32_e32 v1, v1
	s_delay_alu instid0(VALU_DEP_1) | instskip(NEXT) | instid1(VALU_DEP_1)
	v_fmaak_f32 v1, 0x2f800000, v1, 0x2f800000
	v_cmp_gt_f32_e32 vcc_lo, 0x800000, v1
	v_cndmask_b32_e64 v7, 1.0, 0x4f800000, vcc_lo
	s_delay_alu instid0(VALU_DEP_1) | instskip(NEXT) | instid1(VALU_DEP_1)
	v_mul_f32_e32 v1, v1, v7
	v_log_f32_e32 v1, v1
	s_waitcnt_depctr 0xfff
	v_mul_f32_e32 v7, 0x3f317217, v1
	s_delay_alu instid0(VALU_DEP_1) | instskip(NEXT) | instid1(VALU_DEP_1)
	v_fma_f32 v8, 0x3f317217, v1, -v7
	v_fmac_f32_e32 v8, 0x3377d1cf, v1
	s_delay_alu instid0(VALU_DEP_1) | instskip(SKIP_2) | instid1(VALU_DEP_3)
	v_add_f32_e32 v7, v7, v8
	v_cndmask_b32_e64 v8, 0, 0x41b17218, vcc_lo
	v_cmp_gt_f32_e64 vcc_lo, 0x7f800000, |v1|
	v_cndmask_b32_e32 v1, v1, v7, vcc_lo
	s_delay_alu instid0(VALU_DEP_1) | instskip(NEXT) | instid1(VALU_DEP_1)
	v_sub_f32_e32 v1, v1, v8
	v_div_scale_f32 v7, null, v39, v39, v1
	s_delay_alu instid0(VALU_DEP_1) | instskip(SKIP_2) | instid1(VALU_DEP_1)
	v_rcp_f32_e32 v8, v7
	s_waitcnt_depctr 0xfff
	v_fma_f32 v9, -v7, v8, 1.0
	v_fmac_f32_e32 v8, v9, v8
	v_div_scale_f32 v9, vcc_lo, v1, v39, v1
	s_delay_alu instid0(VALU_DEP_1) | instskip(NEXT) | instid1(VALU_DEP_1)
	v_mul_f32_e32 v10, v9, v8
	v_fma_f32 v16, -v7, v10, v9
	s_delay_alu instid0(VALU_DEP_1) | instskip(NEXT) | instid1(VALU_DEP_1)
	v_fmac_f32_e32 v10, v16, v8
	v_fma_f32 v7, -v7, v10, v9
	s_delay_alu instid0(VALU_DEP_1) | instskip(NEXT) | instid1(VALU_DEP_1)
	v_div_fmas_f32 v7, v7, v8, v10
	v_div_fixup_f32 v1, v7, v39, v1
	s_delay_alu instid0(VALU_DEP_1) | instskip(NEXT) | instid1(VALU_DEP_1)
	v_ceil_f32_e32 v1, v1
	v_cvt_f16_f32_e32 v1, v1
	global_store_b16 v0, v1, s[12:13]
.LBB31_49:                              ;   in Loop: Header=BB31_9 Depth=1
	s_or_b32 exec_lo, exec_lo, s35
	v_add_co_u32 v0, vcc_lo, v13, s28
	v_add_co_ci_u32_e32 v1, vcc_lo, 0, v14, vcc_lo
	s_mov_b32 s35, exec_lo
	s_delay_alu instid0(VALU_DEP_1)
	v_cmpx_gt_i64_e64 s[16:17], v[0:1]
	s_cbranch_execz .LBB31_64
; %bb.50:                               ;   in Loop: Header=BB31_9 Depth=1
	s_and_not1_b32 vcc_lo, exec_lo, s11
	s_cbranch_vccnz .LBB31_56
; %bb.51:                               ;   in Loop: Header=BB31_9 Depth=1
	v_mov_b32_e32 v1, 0
	s_and_not1_b32 vcc_lo, exec_lo, s27
	s_cbranch_vccnz .LBB31_60
; %bb.52:                               ;   in Loop: Header=BB31_9 Depth=1
	s_and_not1_b32 vcc_lo, exec_lo, s30
	s_mov_b32 s20, 0
	s_cbranch_vccnz .LBB31_57
; %bb.53:                               ;   in Loop: Header=BB31_9 Depth=1
	v_mov_b32_e32 v1, 0
	v_mov_b32_e32 v7, v0
	s_mov_b32 s36, 0
	s_mov_b64 s[20:21], s[18:19]
	s_mov_b64 s[22:23], s[0:1]
.LBB31_54:                              ;   Parent Loop BB31_9 Depth=1
                                        ; =>  This Inner Loop Header: Depth=2
	s_clause 0x1
	s_load_b256 s[40:47], s[20:21], 0x4
	s_load_b128 s[48:51], s[20:21], 0x24
	s_load_b128 s[52:55], s[22:23], 0x0
	s_add_u32 s20, s20, 48
	s_addc_u32 s21, s21, 0
	s_add_i32 s36, s36, 4
	s_add_u32 s22, s22, 16
	s_addc_u32 s23, s23, 0
	s_cmp_eq_u32 s31, s36
	s_waitcnt lgkmcnt(0)
	v_mul_hi_u32 v8, s41, v7
	s_delay_alu instid0(VALU_DEP_1) | instskip(NEXT) | instid1(VALU_DEP_1)
	v_add_nc_u32_e32 v8, v7, v8
	v_lshrrev_b32_e32 v8, s42, v8
	s_delay_alu instid0(VALU_DEP_1) | instskip(SKIP_1) | instid1(VALU_DEP_2)
	v_mul_hi_u32 v9, s44, v8
	v_mul_lo_u32 v41, v8, s40
	v_add_nc_u32_e32 v9, v8, v9
	s_delay_alu instid0(VALU_DEP_2) | instskip(NEXT) | instid1(VALU_DEP_2)
	v_sub_nc_u32_e32 v41, v7, v41
	v_lshrrev_b32_e32 v9, s45, v9
	s_delay_alu instid0(VALU_DEP_2) | instskip(NEXT) | instid1(VALU_DEP_2)
	v_mul_lo_u32 v41, v41, s52
	v_mul_hi_u32 v10, s47, v9
	v_mul_lo_u32 v42, v9, s43
	s_delay_alu instid0(VALU_DEP_2) | instskip(NEXT) | instid1(VALU_DEP_2)
	v_add_nc_u32_e32 v10, v9, v10
	v_sub_nc_u32_e32 v8, v8, v42
	s_delay_alu instid0(VALU_DEP_2) | instskip(NEXT) | instid1(VALU_DEP_2)
	v_lshrrev_b32_e32 v10, s48, v10
	v_mul_lo_u32 v8, v8, s53
	s_delay_alu instid0(VALU_DEP_2) | instskip(NEXT) | instid1(VALU_DEP_2)
	v_mul_hi_u32 v16, s50, v10
	v_add3_u32 v1, v41, v1, v8
	s_delay_alu instid0(VALU_DEP_2) | instskip(NEXT) | instid1(VALU_DEP_1)
	v_add_nc_u32_e32 v16, v10, v16
	v_lshrrev_b32_e32 v7, s51, v16
	v_mul_lo_u32 v16, v10, s46
	s_delay_alu instid0(VALU_DEP_2) | instskip(NEXT) | instid1(VALU_DEP_2)
	v_mul_lo_u32 v43, v7, s49
	v_sub_nc_u32_e32 v9, v9, v16
	s_delay_alu instid0(VALU_DEP_2) | instskip(NEXT) | instid1(VALU_DEP_2)
	v_sub_nc_u32_e32 v10, v10, v43
	v_mul_lo_u32 v9, v9, s54
	s_delay_alu instid0(VALU_DEP_2) | instskip(NEXT) | instid1(VALU_DEP_1)
	v_mul_lo_u32 v10, v10, s55
	v_add3_u32 v1, v9, v1, v10
	s_cbranch_scc0 .LBB31_54
; %bb.55:                               ;   in Loop: Header=BB31_9 Depth=1
	s_mov_b32 s20, s31
	s_and_not1_b32 vcc_lo, exec_lo, s34
	s_cbranch_vccz .LBB31_58
	s_branch .LBB31_60
.LBB31_56:                              ;   in Loop: Header=BB31_9 Depth=1
                                        ; implicit-def: $vgpr1
	s_branch .LBB31_61
.LBB31_57:                              ;   in Loop: Header=BB31_9 Depth=1
	v_mov_b32_e32 v7, v0
	s_and_not1_b32 vcc_lo, exec_lo, s34
	s_cbranch_vccnz .LBB31_60
.LBB31_58:                              ;   in Loop: Header=BB31_9 Depth=1
	s_lshl_b32 s21, s20, 2
	s_mul_i32 s22, s20, 12
	s_add_u32 s20, s0, s21
	s_addc_u32 s21, s1, 0
	s_add_u32 s22, s18, s22
	s_addc_u32 s23, s19, 0
	s_mov_b32 s36, s29
	.p2align	6
.LBB31_59:                              ;   Parent Loop BB31_9 Depth=1
                                        ; =>  This Inner Loop Header: Depth=2
	s_clause 0x1
	s_load_b64 s[38:39], s[22:23], 0x4
	s_load_b32 s37, s[22:23], 0xc
	s_add_u32 s22, s22, 12
	s_addc_u32 s23, s23, 0
	s_waitcnt lgkmcnt(0)
	v_mul_hi_u32 v8, s39, v7
	s_load_b32 s39, s[20:21], 0x0
	s_add_u32 s20, s20, 4
	s_addc_u32 s21, s21, 0
	s_add_i32 s36, s36, -1
	s_delay_alu instid0(SALU_CYCLE_1) | instskip(NEXT) | instid1(VALU_DEP_1)
	s_cmp_lg_u32 s36, 0
	v_add_nc_u32_e32 v8, v7, v8
	s_delay_alu instid0(VALU_DEP_1) | instskip(NEXT) | instid1(VALU_DEP_1)
	v_lshrrev_b32_e32 v10, s37, v8
	v_mul_lo_u32 v8, v10, s38
	s_delay_alu instid0(VALU_DEP_1) | instskip(SKIP_1) | instid1(VALU_DEP_1)
	v_sub_nc_u32_e32 v7, v7, v8
	s_waitcnt lgkmcnt(0)
	v_mad_u64_u32 v[8:9], null, v7, s39, v[1:2]
	v_mov_b32_e32 v7, v10
	s_delay_alu instid0(VALU_DEP_2)
	v_mov_b32_e32 v1, v8
	s_cbranch_scc1 .LBB31_59
.LBB31_60:                              ;   in Loop: Header=BB31_9 Depth=1
	s_cbranch_execnz .LBB31_63
.LBB31_61:                              ;   in Loop: Header=BB31_9 Depth=1
	v_mul_hi_u32 v1, v0, s6
	s_and_not1_b32 vcc_lo, exec_lo, s4
	s_delay_alu instid0(VALU_DEP_1) | instskip(NEXT) | instid1(VALU_DEP_1)
	v_add_nc_u32_e32 v1, v1, v0
	v_lshrrev_b32_e32 v7, s7, v1
	s_delay_alu instid0(VALU_DEP_1) | instskip(NEXT) | instid1(VALU_DEP_1)
	v_mul_lo_u32 v1, v7, s5
	v_sub_nc_u32_e32 v0, v0, v1
	s_waitcnt lgkmcnt(0)
	s_delay_alu instid0(VALU_DEP_1)
	v_mul_lo_u32 v1, v0, s14
	s_cbranch_vccnz .LBB31_63
; %bb.62:                               ;   in Loop: Header=BB31_9 Depth=1
	v_mul_hi_u32 v0, s9, v7
	s_delay_alu instid0(VALU_DEP_1) | instskip(NEXT) | instid1(VALU_DEP_1)
	v_add_nc_u32_e32 v0, v7, v0
	v_lshrrev_b32_e32 v0, s10, v0
	s_delay_alu instid0(VALU_DEP_1) | instskip(NEXT) | instid1(VALU_DEP_1)
	v_mul_lo_u32 v0, v0, s8
	v_sub_nc_u32_e32 v0, v7, v0
	s_delay_alu instid0(VALU_DEP_1) | instskip(NEXT) | instid1(VALU_DEP_1)
	v_mad_u64_u32 v[7:8], null, v0, s15, v[1:2]
	v_mov_b32_e32 v1, v7
.LBB31_63:                              ;   in Loop: Header=BB31_9 Depth=1
	v_cvt_f32_u32_e32 v0, v2
	s_delay_alu instid0(VALU_DEP_1) | instskip(NEXT) | instid1(VALU_DEP_1)
	v_fmaak_f32 v0, 0x2f800000, v0, 0x2f800000
	v_cmp_gt_f32_e32 vcc_lo, 0x800000, v0
	v_cndmask_b32_e64 v2, 1.0, 0x4f800000, vcc_lo
	s_delay_alu instid0(VALU_DEP_1) | instskip(NEXT) | instid1(VALU_DEP_1)
	v_mul_f32_e32 v0, v0, v2
	v_log_f32_e32 v0, v0
	s_waitcnt_depctr 0xfff
	v_mul_f32_e32 v2, 0x3f317217, v0
	s_delay_alu instid0(VALU_DEP_1) | instskip(NEXT) | instid1(VALU_DEP_1)
	v_fma_f32 v7, 0x3f317217, v0, -v2
	v_fmac_f32_e32 v7, 0x3377d1cf, v0
	s_delay_alu instid0(VALU_DEP_1) | instskip(SKIP_2) | instid1(VALU_DEP_3)
	v_add_f32_e32 v2, v2, v7
	v_cndmask_b32_e64 v7, 0, 0x41b17218, vcc_lo
	v_cmp_gt_f32_e64 vcc_lo, 0x7f800000, |v0|
	v_cndmask_b32_e32 v0, v0, v2, vcc_lo
	s_delay_alu instid0(VALU_DEP_1) | instskip(NEXT) | instid1(VALU_DEP_1)
	v_sub_f32_e32 v0, v0, v7
	v_div_scale_f32 v2, null, v39, v39, v0
	s_delay_alu instid0(VALU_DEP_1) | instskip(SKIP_2) | instid1(VALU_DEP_1)
	v_rcp_f32_e32 v7, v2
	s_waitcnt_depctr 0xfff
	v_fma_f32 v8, -v2, v7, 1.0
	v_fmac_f32_e32 v7, v8, v7
	v_div_scale_f32 v8, vcc_lo, v0, v39, v0
	s_delay_alu instid0(VALU_DEP_1) | instskip(NEXT) | instid1(VALU_DEP_1)
	v_mul_f32_e32 v9, v8, v7
	v_fma_f32 v10, -v2, v9, v8
	s_delay_alu instid0(VALU_DEP_1) | instskip(NEXT) | instid1(VALU_DEP_1)
	v_fmac_f32_e32 v9, v10, v7
	v_fma_f32 v2, -v2, v9, v8
	s_delay_alu instid0(VALU_DEP_1) | instskip(NEXT) | instid1(VALU_DEP_1)
	v_div_fmas_f32 v2, v2, v7, v9
	v_div_fixup_f32 v0, v2, v39, v0
	s_delay_alu instid0(VALU_DEP_1) | instskip(NEXT) | instid1(VALU_DEP_1)
	v_ceil_f32_e32 v0, v0
	v_cvt_f16_f32_e32 v0, v0
	global_store_b16 v1, v0, s[12:13]
.LBB31_64:                              ;   in Loop: Header=BB31_9 Depth=1
	s_or_b32 exec_lo, exec_lo, s35
	v_add_co_u32 v0, vcc_lo, v13, s33
	v_add_co_ci_u32_e32 v1, vcc_lo, 0, v14, vcc_lo
	s_mov_b32 s35, exec_lo
	s_delay_alu instid0(VALU_DEP_1)
	v_cmpx_gt_i64_e64 s[16:17], v[0:1]
	s_cbranch_execz .LBB31_8
; %bb.65:                               ;   in Loop: Header=BB31_9 Depth=1
	s_and_not1_b32 vcc_lo, exec_lo, s11
	s_cbranch_vccnz .LBB31_71
; %bb.66:                               ;   in Loop: Header=BB31_9 Depth=1
	v_mov_b32_e32 v1, 0
	s_and_not1_b32 vcc_lo, exec_lo, s27
	s_cbranch_vccnz .LBB31_75
; %bb.67:                               ;   in Loop: Header=BB31_9 Depth=1
	s_and_not1_b32 vcc_lo, exec_lo, s30
	s_mov_b32 s20, 0
	s_cbranch_vccnz .LBB31_72
; %bb.68:                               ;   in Loop: Header=BB31_9 Depth=1
	v_dual_mov_b32 v1, 0 :: v_dual_mov_b32 v2, v0
	s_mov_b32 s36, 0
	s_mov_b64 s[20:21], s[18:19]
	s_mov_b64 s[22:23], s[0:1]
.LBB31_69:                              ;   Parent Loop BB31_9 Depth=1
                                        ; =>  This Inner Loop Header: Depth=2
	s_clause 0x1
	s_load_b256 s[40:47], s[20:21], 0x4
	s_load_b128 s[48:51], s[20:21], 0x24
	s_load_b128 s[52:55], s[22:23], 0x0
	s_add_u32 s20, s20, 48
	s_addc_u32 s21, s21, 0
	s_add_i32 s36, s36, 4
	s_add_u32 s22, s22, 16
	s_addc_u32 s23, s23, 0
	s_cmp_eq_u32 s31, s36
	s_waitcnt lgkmcnt(0)
	v_mul_hi_u32 v7, s41, v2
	s_delay_alu instid0(VALU_DEP_1) | instskip(NEXT) | instid1(VALU_DEP_1)
	v_add_nc_u32_e32 v7, v2, v7
	v_lshrrev_b32_e32 v7, s42, v7
	s_delay_alu instid0(VALU_DEP_1) | instskip(SKIP_1) | instid1(VALU_DEP_2)
	v_mul_hi_u32 v8, s44, v7
	v_mul_lo_u32 v16, v7, s40
	v_add_nc_u32_e32 v8, v7, v8
	s_delay_alu instid0(VALU_DEP_2) | instskip(NEXT) | instid1(VALU_DEP_2)
	v_sub_nc_u32_e32 v16, v2, v16
	v_lshrrev_b32_e32 v8, s45, v8
	s_delay_alu instid0(VALU_DEP_2) | instskip(NEXT) | instid1(VALU_DEP_2)
	v_mul_lo_u32 v16, v16, s52
	v_mul_hi_u32 v9, s47, v8
	v_mul_lo_u32 v41, v8, s43
	s_delay_alu instid0(VALU_DEP_2) | instskip(NEXT) | instid1(VALU_DEP_2)
	v_add_nc_u32_e32 v9, v8, v9
	v_sub_nc_u32_e32 v7, v7, v41
	s_delay_alu instid0(VALU_DEP_2) | instskip(NEXT) | instid1(VALU_DEP_2)
	v_lshrrev_b32_e32 v9, s48, v9
	v_mul_lo_u32 v7, v7, s53
	s_delay_alu instid0(VALU_DEP_2) | instskip(NEXT) | instid1(VALU_DEP_2)
	v_mul_hi_u32 v10, s50, v9
	v_add3_u32 v1, v16, v1, v7
	s_delay_alu instid0(VALU_DEP_2) | instskip(NEXT) | instid1(VALU_DEP_1)
	v_add_nc_u32_e32 v10, v9, v10
	v_lshrrev_b32_e32 v2, s51, v10
	v_mul_lo_u32 v10, v9, s46
	s_delay_alu instid0(VALU_DEP_2) | instskip(NEXT) | instid1(VALU_DEP_2)
	v_mul_lo_u32 v42, v2, s49
	v_sub_nc_u32_e32 v8, v8, v10
	s_delay_alu instid0(VALU_DEP_2) | instskip(NEXT) | instid1(VALU_DEP_2)
	v_sub_nc_u32_e32 v9, v9, v42
	v_mul_lo_u32 v8, v8, s54
	s_delay_alu instid0(VALU_DEP_2) | instskip(NEXT) | instid1(VALU_DEP_1)
	v_mul_lo_u32 v9, v9, s55
	v_add3_u32 v1, v8, v1, v9
	s_cbranch_scc0 .LBB31_69
; %bb.70:                               ;   in Loop: Header=BB31_9 Depth=1
	s_mov_b32 s20, s31
	s_and_not1_b32 vcc_lo, exec_lo, s34
	s_cbranch_vccz .LBB31_73
	s_branch .LBB31_75
.LBB31_71:                              ;   in Loop: Header=BB31_9 Depth=1
                                        ; implicit-def: $vgpr1
	s_branch .LBB31_76
.LBB31_72:                              ;   in Loop: Header=BB31_9 Depth=1
	v_mov_b32_e32 v2, v0
	s_and_not1_b32 vcc_lo, exec_lo, s34
	s_cbranch_vccnz .LBB31_75
.LBB31_73:                              ;   in Loop: Header=BB31_9 Depth=1
	s_lshl_b32 s21, s20, 2
	s_mul_i32 s22, s20, 12
	s_add_u32 s20, s0, s21
	s_addc_u32 s21, s1, 0
	s_add_u32 s22, s18, s22
	s_addc_u32 s23, s19, 0
	s_mov_b32 s36, s29
	.p2align	6
.LBB31_74:                              ;   Parent Loop BB31_9 Depth=1
                                        ; =>  This Inner Loop Header: Depth=2
	s_clause 0x1
	s_load_b64 s[38:39], s[22:23], 0x4
	s_load_b32 s37, s[22:23], 0xc
	s_add_u32 s22, s22, 12
	s_addc_u32 s23, s23, 0
	s_waitcnt lgkmcnt(0)
	v_mul_hi_u32 v7, s39, v2
	s_load_b32 s39, s[20:21], 0x0
	s_add_u32 s20, s20, 4
	s_addc_u32 s21, s21, 0
	s_add_i32 s36, s36, -1
	s_delay_alu instid0(SALU_CYCLE_1) | instskip(NEXT) | instid1(VALU_DEP_1)
	s_cmp_lg_u32 s36, 0
	v_add_nc_u32_e32 v7, v2, v7
	s_delay_alu instid0(VALU_DEP_1) | instskip(NEXT) | instid1(VALU_DEP_1)
	v_lshrrev_b32_e32 v9, s37, v7
	v_mul_lo_u32 v7, v9, s38
	s_delay_alu instid0(VALU_DEP_1) | instskip(SKIP_1) | instid1(VALU_DEP_1)
	v_sub_nc_u32_e32 v2, v2, v7
	s_waitcnt lgkmcnt(0)
	v_mad_u64_u32 v[7:8], null, v2, s39, v[1:2]
	s_delay_alu instid0(VALU_DEP_1)
	v_dual_mov_b32 v2, v9 :: v_dual_mov_b32 v1, v7
	s_cbranch_scc1 .LBB31_74
.LBB31_75:                              ;   in Loop: Header=BB31_9 Depth=1
	s_cbranch_execnz .LBB31_7
.LBB31_76:                              ;   in Loop: Header=BB31_9 Depth=1
	v_mul_hi_u32 v1, v0, s6
	s_and_not1_b32 vcc_lo, exec_lo, s4
	s_delay_alu instid0(VALU_DEP_1) | instskip(NEXT) | instid1(VALU_DEP_1)
	v_add_nc_u32_e32 v1, v1, v0
	v_lshrrev_b32_e32 v2, s7, v1
	s_delay_alu instid0(VALU_DEP_1) | instskip(NEXT) | instid1(VALU_DEP_1)
	v_mul_lo_u32 v1, v2, s5
	v_sub_nc_u32_e32 v0, v0, v1
	s_waitcnt lgkmcnt(0)
	s_delay_alu instid0(VALU_DEP_1)
	v_mul_lo_u32 v1, v0, s14
	s_cbranch_vccnz .LBB31_7
; %bb.77:                               ;   in Loop: Header=BB31_9 Depth=1
	v_mul_hi_u32 v0, s9, v2
	s_delay_alu instid0(VALU_DEP_1) | instskip(NEXT) | instid1(VALU_DEP_1)
	v_add_nc_u32_e32 v0, v2, v0
	v_lshrrev_b32_e32 v0, s10, v0
	s_delay_alu instid0(VALU_DEP_1) | instskip(NEXT) | instid1(VALU_DEP_1)
	v_mul_lo_u32 v0, v0, s8
	v_sub_nc_u32_e32 v0, v2, v0
	s_delay_alu instid0(VALU_DEP_1) | instskip(NEXT) | instid1(VALU_DEP_1)
	v_mad_u64_u32 v[7:8], null, v0, s15, v[1:2]
	v_mov_b32_e32 v1, v7
	s_branch .LBB31_7
.LBB31_78:
	s_endpgm
.LBB31_79:
                                        ; implicit-def: $sgpr2_sgpr3
	s_branch .LBB31_4
	.section	.rodata,"a",@progbits
	.p2align	6, 0x0
	.amdhsa_kernel _ZN2at6native12_GLOBAL__N_143distribution_elementwise_grid_stride_kernelIfLi4EZNS0_9templates4cuda21uniform_and_transformIN3c104HalfEfPNS_17CUDAGeneratorImplEZZZNS4_16geometric_kernelIS9_EEvRNS_18TensorIteratorBaseEdT_ENKUlvE_clEvENKUlvE6_clEvEUlfE_EEvSC_T1_T2_EUlP25hiprandStatePhilox4_32_10E0_ZNS1_27distribution_nullary_kernelIS7_f15HIP_vector_typeIfLj4EES9_SL_SG_EEvSC_SI_RKT3_T4_EUlifE0_EEvlNS_15PhiloxCudaStateESH_SI_
		.amdhsa_group_segment_fixed_size 0
		.amdhsa_private_segment_fixed_size 0
		.amdhsa_kernarg_size 584
		.amdhsa_user_sgpr_count 15
		.amdhsa_user_sgpr_dispatch_ptr 0
		.amdhsa_user_sgpr_queue_ptr 0
		.amdhsa_user_sgpr_kernarg_segment_ptr 1
		.amdhsa_user_sgpr_dispatch_id 0
		.amdhsa_user_sgpr_private_segment_size 0
		.amdhsa_wavefront_size32 1
		.amdhsa_uses_dynamic_stack 0
		.amdhsa_enable_private_segment 0
		.amdhsa_system_sgpr_workgroup_id_x 1
		.amdhsa_system_sgpr_workgroup_id_y 0
		.amdhsa_system_sgpr_workgroup_id_z 0
		.amdhsa_system_sgpr_workgroup_info 0
		.amdhsa_system_vgpr_workitem_id 0
		.amdhsa_next_free_vgpr 45
		.amdhsa_next_free_sgpr 56
		.amdhsa_reserve_vcc 1
		.amdhsa_float_round_mode_32 0
		.amdhsa_float_round_mode_16_64 0
		.amdhsa_float_denorm_mode_32 3
		.amdhsa_float_denorm_mode_16_64 3
		.amdhsa_dx10_clamp 1
		.amdhsa_ieee_mode 1
		.amdhsa_fp16_overflow 0
		.amdhsa_workgroup_processor_mode 1
		.amdhsa_memory_ordered 1
		.amdhsa_forward_progress 0
		.amdhsa_shared_vgpr_count 0
		.amdhsa_exception_fp_ieee_invalid_op 0
		.amdhsa_exception_fp_denorm_src 0
		.amdhsa_exception_fp_ieee_div_zero 0
		.amdhsa_exception_fp_ieee_overflow 0
		.amdhsa_exception_fp_ieee_underflow 0
		.amdhsa_exception_fp_ieee_inexact 0
		.amdhsa_exception_int_div_zero 0
	.end_amdhsa_kernel
	.section	.text._ZN2at6native12_GLOBAL__N_143distribution_elementwise_grid_stride_kernelIfLi4EZNS0_9templates4cuda21uniform_and_transformIN3c104HalfEfPNS_17CUDAGeneratorImplEZZZNS4_16geometric_kernelIS9_EEvRNS_18TensorIteratorBaseEdT_ENKUlvE_clEvENKUlvE6_clEvEUlfE_EEvSC_T1_T2_EUlP25hiprandStatePhilox4_32_10E0_ZNS1_27distribution_nullary_kernelIS7_f15HIP_vector_typeIfLj4EES9_SL_SG_EEvSC_SI_RKT3_T4_EUlifE0_EEvlNS_15PhiloxCudaStateESH_SI_,"axG",@progbits,_ZN2at6native12_GLOBAL__N_143distribution_elementwise_grid_stride_kernelIfLi4EZNS0_9templates4cuda21uniform_and_transformIN3c104HalfEfPNS_17CUDAGeneratorImplEZZZNS4_16geometric_kernelIS9_EEvRNS_18TensorIteratorBaseEdT_ENKUlvE_clEvENKUlvE6_clEvEUlfE_EEvSC_T1_T2_EUlP25hiprandStatePhilox4_32_10E0_ZNS1_27distribution_nullary_kernelIS7_f15HIP_vector_typeIfLj4EES9_SL_SG_EEvSC_SI_RKT3_T4_EUlifE0_EEvlNS_15PhiloxCudaStateESH_SI_,comdat
.Lfunc_end31:
	.size	_ZN2at6native12_GLOBAL__N_143distribution_elementwise_grid_stride_kernelIfLi4EZNS0_9templates4cuda21uniform_and_transformIN3c104HalfEfPNS_17CUDAGeneratorImplEZZZNS4_16geometric_kernelIS9_EEvRNS_18TensorIteratorBaseEdT_ENKUlvE_clEvENKUlvE6_clEvEUlfE_EEvSC_T1_T2_EUlP25hiprandStatePhilox4_32_10E0_ZNS1_27distribution_nullary_kernelIS7_f15HIP_vector_typeIfLj4EES9_SL_SG_EEvSC_SI_RKT3_T4_EUlifE0_EEvlNS_15PhiloxCudaStateESH_SI_, .Lfunc_end31-_ZN2at6native12_GLOBAL__N_143distribution_elementwise_grid_stride_kernelIfLi4EZNS0_9templates4cuda21uniform_and_transformIN3c104HalfEfPNS_17CUDAGeneratorImplEZZZNS4_16geometric_kernelIS9_EEvRNS_18TensorIteratorBaseEdT_ENKUlvE_clEvENKUlvE6_clEvEUlfE_EEvSC_T1_T2_EUlP25hiprandStatePhilox4_32_10E0_ZNS1_27distribution_nullary_kernelIS7_f15HIP_vector_typeIfLj4EES9_SL_SG_EEvSC_SI_RKT3_T4_EUlifE0_EEvlNS_15PhiloxCudaStateESH_SI_
                                        ; -- End function
	.section	.AMDGPU.csdata,"",@progbits
; Kernel info:
; codeLenInByte = 6756
; NumSgprs: 58
; NumVgprs: 45
; ScratchSize: 0
; MemoryBound: 0
; FloatMode: 240
; IeeeMode: 1
; LDSByteSize: 0 bytes/workgroup (compile time only)
; SGPRBlocks: 7
; VGPRBlocks: 5
; NumSGPRsForWavesPerEU: 58
; NumVGPRsForWavesPerEU: 45
; Occupancy: 16
; WaveLimiterHint : 1
; COMPUTE_PGM_RSRC2:SCRATCH_EN: 0
; COMPUTE_PGM_RSRC2:USER_SGPR: 15
; COMPUTE_PGM_RSRC2:TRAP_HANDLER: 0
; COMPUTE_PGM_RSRC2:TGID_X_EN: 1
; COMPUTE_PGM_RSRC2:TGID_Y_EN: 0
; COMPUTE_PGM_RSRC2:TGID_Z_EN: 0
; COMPUTE_PGM_RSRC2:TIDIG_COMP_CNT: 0
	.section	.text._ZN2at6native12_GLOBAL__N_143distribution_elementwise_grid_stride_kernelIfLi4EZNS0_9templates4cuda21uniform_and_transformIN3c108BFloat16EfPNS_17CUDAGeneratorImplEZZZNS4_16geometric_kernelIS9_EEvRNS_18TensorIteratorBaseEdT_ENKUlvE_clEvENKUlvE7_clEvEUlfE_EEvSC_T1_T2_EUlP25hiprandStatePhilox4_32_10E_ZNS1_27distribution_nullary_kernelIS7_f15HIP_vector_typeIdLj2EES9_SL_SG_EEvSC_SI_RKT3_T4_EUlifE_EEvlNS_15PhiloxCudaStateESH_SI_,"axG",@progbits,_ZN2at6native12_GLOBAL__N_143distribution_elementwise_grid_stride_kernelIfLi4EZNS0_9templates4cuda21uniform_and_transformIN3c108BFloat16EfPNS_17CUDAGeneratorImplEZZZNS4_16geometric_kernelIS9_EEvRNS_18TensorIteratorBaseEdT_ENKUlvE_clEvENKUlvE7_clEvEUlfE_EEvSC_T1_T2_EUlP25hiprandStatePhilox4_32_10E_ZNS1_27distribution_nullary_kernelIS7_f15HIP_vector_typeIdLj2EES9_SL_SG_EEvSC_SI_RKT3_T4_EUlifE_EEvlNS_15PhiloxCudaStateESH_SI_,comdat
	.globl	_ZN2at6native12_GLOBAL__N_143distribution_elementwise_grid_stride_kernelIfLi4EZNS0_9templates4cuda21uniform_and_transformIN3c108BFloat16EfPNS_17CUDAGeneratorImplEZZZNS4_16geometric_kernelIS9_EEvRNS_18TensorIteratorBaseEdT_ENKUlvE_clEvENKUlvE7_clEvEUlfE_EEvSC_T1_T2_EUlP25hiprandStatePhilox4_32_10E_ZNS1_27distribution_nullary_kernelIS7_f15HIP_vector_typeIdLj2EES9_SL_SG_EEvSC_SI_RKT3_T4_EUlifE_EEvlNS_15PhiloxCudaStateESH_SI_ ; -- Begin function _ZN2at6native12_GLOBAL__N_143distribution_elementwise_grid_stride_kernelIfLi4EZNS0_9templates4cuda21uniform_and_transformIN3c108BFloat16EfPNS_17CUDAGeneratorImplEZZZNS4_16geometric_kernelIS9_EEvRNS_18TensorIteratorBaseEdT_ENKUlvE_clEvENKUlvE7_clEvEUlfE_EEvSC_T1_T2_EUlP25hiprandStatePhilox4_32_10E_ZNS1_27distribution_nullary_kernelIS7_f15HIP_vector_typeIdLj2EES9_SL_SG_EEvSC_SI_RKT3_T4_EUlifE_EEvlNS_15PhiloxCudaStateESH_SI_
	.p2align	8
	.type	_ZN2at6native12_GLOBAL__N_143distribution_elementwise_grid_stride_kernelIfLi4EZNS0_9templates4cuda21uniform_and_transformIN3c108BFloat16EfPNS_17CUDAGeneratorImplEZZZNS4_16geometric_kernelIS9_EEvRNS_18TensorIteratorBaseEdT_ENKUlvE_clEvENKUlvE7_clEvEUlfE_EEvSC_T1_T2_EUlP25hiprandStatePhilox4_32_10E_ZNS1_27distribution_nullary_kernelIS7_f15HIP_vector_typeIdLj2EES9_SL_SG_EEvSC_SI_RKT3_T4_EUlifE_EEvlNS_15PhiloxCudaStateESH_SI_,@function
_ZN2at6native12_GLOBAL__N_143distribution_elementwise_grid_stride_kernelIfLi4EZNS0_9templates4cuda21uniform_and_transformIN3c108BFloat16EfPNS_17CUDAGeneratorImplEZZZNS4_16geometric_kernelIS9_EEvRNS_18TensorIteratorBaseEdT_ENKUlvE_clEvENKUlvE7_clEvEUlfE_EEvSC_T1_T2_EUlP25hiprandStatePhilox4_32_10E_ZNS1_27distribution_nullary_kernelIS7_f15HIP_vector_typeIdLj2EES9_SL_SG_EEvSC_SI_RKT3_T4_EUlifE_EEvlNS_15PhiloxCudaStateESH_SI_: ; @_ZN2at6native12_GLOBAL__N_143distribution_elementwise_grid_stride_kernelIfLi4EZNS0_9templates4cuda21uniform_and_transformIN3c108BFloat16EfPNS_17CUDAGeneratorImplEZZZNS4_16geometric_kernelIS9_EEvRNS_18TensorIteratorBaseEdT_ENKUlvE_clEvENKUlvE7_clEvEUlfE_EEvSC_T1_T2_EUlP25hiprandStatePhilox4_32_10E_ZNS1_27distribution_nullary_kernelIS7_f15HIP_vector_typeIdLj2EES9_SL_SG_EEvSC_SI_RKT3_T4_EUlifE_EEvlNS_15PhiloxCudaStateESH_SI_
; %bb.0:
	s_clause 0x2
	s_load_b64 s[8:9], s[0:1], 0x10
	s_load_b128 s[4:7], s[0:1], 0x0
	s_load_b32 s2, s[0:1], 0x20
	s_waitcnt lgkmcnt(0)
	v_dual_mov_b32 v2, s8 :: v_dual_mov_b32 v3, s9
	v_dual_mov_b32 v9, s7 :: v_dual_mov_b32 v8, s6
	s_bitcmp0_b32 s2, 0
	s_mov_b32 s2, 0
	s_cbranch_scc1 .LBB32_2
; %bb.1:
	v_dual_mov_b32 v1, s8 :: v_dual_mov_b32 v2, s9
	v_dual_mov_b32 v4, s6 :: v_dual_mov_b32 v5, s7
	s_load_b64 s[6:7], s[0:1], 0x18
	flat_load_b64 v[2:3], v[1:2]
	flat_load_b64 v[8:9], v[4:5]
	s_waitcnt vmcnt(1) lgkmcnt(0)
	v_add_co_u32 v2, vcc_lo, v2, s6
	v_add_co_ci_u32_e32 v3, vcc_lo, s7, v3, vcc_lo
.LBB32_2:
	s_clause 0x1
	s_load_b32 s3, s[0:1], 0x54
	s_load_b32 s11, s[0:1], 0x48
	s_waitcnt lgkmcnt(0)
	s_and_b32 s10, s3, 0xffff
	s_add_u32 s6, s4, -1
	s_mul_i32 s8, s11, s10
	s_addc_u32 s3, s5, -1
	s_lshl_b32 s9, s8, 2
	s_cmp_lg_u64 s[2:3], 0
	s_cbranch_scc0 .LBB32_27
; %bb.3:
	v_cvt_f32_ubyte0_e32 v1, 0
	v_cvt_f32_u32_e32 v4, s9
	s_sub_u32 s12, 0, s9
	s_subb_u32 s13, 0, 0
	s_delay_alu instid0(VALU_DEP_1) | instskip(NEXT) | instid1(VALU_DEP_1)
	v_fmamk_f32 v1, v1, 0x4f800000, v4
	v_rcp_f32_e32 v1, v1
	s_waitcnt_depctr 0xfff
	v_mul_f32_e32 v1, 0x5f7ffffc, v1
	s_delay_alu instid0(VALU_DEP_1) | instskip(NEXT) | instid1(VALU_DEP_1)
	v_mul_f32_e32 v4, 0x2f800000, v1
	v_trunc_f32_e32 v4, v4
	s_delay_alu instid0(VALU_DEP_1) | instskip(SKIP_1) | instid1(VALU_DEP_2)
	v_fmamk_f32 v1, v4, 0xcf800000, v1
	v_cvt_u32_f32_e32 v4, v4
	v_cvt_u32_f32_e32 v1, v1
	s_delay_alu instid0(VALU_DEP_2) | instskip(NEXT) | instid1(VALU_DEP_2)
	v_readfirstlane_b32 s2, v4
	v_readfirstlane_b32 s7, v1
	s_delay_alu instid0(VALU_DEP_2) | instskip(NEXT) | instid1(VALU_DEP_1)
	s_mul_i32 s14, s12, s2
	s_mul_hi_u32 s17, s12, s7
	s_mul_i32 s16, s13, s7
	s_add_i32 s14, s17, s14
	s_mul_i32 s18, s12, s7
	s_add_i32 s14, s14, s16
	s_mul_hi_u32 s17, s7, s18
	s_mul_hi_u32 s19, s2, s18
	s_mul_i32 s16, s2, s18
	s_mul_hi_u32 s18, s7, s14
	s_mul_i32 s7, s7, s14
	s_mul_hi_u32 s20, s2, s14
	s_add_u32 s7, s17, s7
	s_addc_u32 s17, 0, s18
	s_add_u32 s7, s7, s16
	s_mul_i32 s14, s2, s14
	s_addc_u32 s7, s17, s19
	s_addc_u32 s16, s20, 0
	s_add_u32 s7, s7, s14
	s_addc_u32 s14, 0, s16
	v_add_co_u32 v1, s7, v1, s7
	s_delay_alu instid0(VALU_DEP_1) | instskip(SKIP_1) | instid1(VALU_DEP_1)
	s_cmp_lg_u32 s7, 0
	s_addc_u32 s2, s2, s14
	v_readfirstlane_b32 s7, v1
	s_mul_i32 s14, s12, s2
	s_delay_alu instid0(VALU_DEP_1)
	s_mul_hi_u32 s16, s12, s7
	s_mul_i32 s13, s13, s7
	s_add_i32 s14, s16, s14
	s_mul_i32 s12, s12, s7
	s_add_i32 s14, s14, s13
	s_mul_hi_u32 s16, s2, s12
	s_mul_i32 s17, s2, s12
	s_mul_hi_u32 s12, s7, s12
	s_mul_hi_u32 s18, s7, s14
	s_mul_i32 s7, s7, s14
	s_mul_hi_u32 s13, s2, s14
	s_add_u32 s7, s12, s7
	s_addc_u32 s12, 0, s18
	s_add_u32 s7, s7, s17
	s_mul_i32 s14, s2, s14
	s_addc_u32 s7, s12, s16
	s_addc_u32 s12, s13, 0
	s_add_u32 s7, s7, s14
	s_addc_u32 s12, 0, s12
	v_add_co_u32 v1, s7, v1, s7
	s_delay_alu instid0(VALU_DEP_1) | instskip(SKIP_2) | instid1(VALU_DEP_1)
	s_cmp_lg_u32 s7, 0
	s_addc_u32 s7, s2, s12
	s_ashr_i32 s12, s3, 31
	v_readfirstlane_b32 s14, v1
	s_add_u32 s2, s6, s12
	s_mov_b32 s13, s12
	s_addc_u32 s3, s3, s12
	s_delay_alu instid0(SALU_CYCLE_1) | instskip(NEXT) | instid1(SALU_CYCLE_1)
	s_xor_b64 s[2:3], s[2:3], s[12:13]
	s_mul_i32 s17, s2, s7
	s_mul_hi_u32 s18, s2, s14
	s_mul_hi_u32 s16, s2, s7
	;; [unrolled: 1-line block ×3, first 2 shown]
	s_mul_i32 s14, s3, s14
	s_add_u32 s17, s18, s17
	s_addc_u32 s16, 0, s16
	s_mul_hi_u32 s19, s3, s7
	s_add_u32 s14, s17, s14
	s_mul_i32 s7, s3, s7
	s_addc_u32 s14, s16, s20
	s_addc_u32 s16, s19, 0
	s_add_u32 s7, s14, s7
	s_addc_u32 s14, 0, s16
	s_mul_i32 s17, s9, s7
	s_add_u32 s16, s7, 1
	v_sub_co_u32 v1, s2, s2, s17
	s_mul_hi_u32 s17, s9, s7
	s_addc_u32 s18, s14, 0
	s_mul_i32 s19, s9, s14
	s_delay_alu instid0(VALU_DEP_1)
	v_sub_co_u32 v4, s20, v1, s9
	s_add_u32 s21, s7, 2
	s_addc_u32 s22, s14, 0
	s_add_i32 s17, s17, s19
	s_cmp_lg_u32 s2, 0
	v_readfirstlane_b32 s2, v4
	s_subb_u32 s3, s3, s17
	s_cmp_lg_u32 s20, 0
	s_subb_u32 s17, s3, 0
	s_delay_alu instid0(VALU_DEP_1) | instskip(SKIP_4) | instid1(SALU_CYCLE_1)
	s_cmp_ge_u32 s2, s9
	s_cselect_b32 s2, -1, 0
	s_cmp_eq_u32 s17, 0
	v_readfirstlane_b32 s17, v1
	s_cselect_b32 s2, s2, -1
	s_cmp_lg_u32 s2, 0
	s_cselect_b32 s2, s21, s16
	s_cselect_b32 s16, s22, s18
	s_cmp_ge_u32 s17, s9
	s_cselect_b32 s17, -1, 0
	s_cmp_eq_u32 s3, 0
	s_cselect_b32 s3, s17, -1
	s_delay_alu instid0(SALU_CYCLE_1) | instskip(SKIP_2) | instid1(SALU_CYCLE_1)
	s_cmp_lg_u32 s3, 0
	s_cselect_b32 s3, s16, s14
	s_cselect_b32 s2, s2, s7
	s_xor_b64 s[2:3], s[2:3], s[12:13]
	s_delay_alu instid0(SALU_CYCLE_1)
	s_sub_u32 s2, s2, s12
	s_subb_u32 s3, s3, s12
	s_cbranch_execnz .LBB32_5
.LBB32_4:
	v_cvt_f32_u32_e32 v1, s9
	s_sub_i32 s3, 0, s9
	s_delay_alu instid0(VALU_DEP_1) | instskip(SKIP_2) | instid1(VALU_DEP_1)
	v_rcp_iflag_f32_e32 v1, v1
	s_waitcnt_depctr 0xfff
	v_mul_f32_e32 v1, 0x4f7ffffe, v1
	v_cvt_u32_f32_e32 v1, v1
	s_delay_alu instid0(VALU_DEP_1) | instskip(NEXT) | instid1(VALU_DEP_1)
	v_readfirstlane_b32 s2, v1
	s_mul_i32 s3, s3, s2
	s_delay_alu instid0(SALU_CYCLE_1) | instskip(NEXT) | instid1(SALU_CYCLE_1)
	s_mul_hi_u32 s3, s2, s3
	s_add_i32 s2, s2, s3
	s_delay_alu instid0(SALU_CYCLE_1) | instskip(NEXT) | instid1(SALU_CYCLE_1)
	s_mul_hi_u32 s2, s6, s2
	s_mul_i32 s3, s2, s9
	s_delay_alu instid0(SALU_CYCLE_1)
	s_sub_i32 s3, s6, s3
	s_add_i32 s6, s2, 1
	s_sub_i32 s7, s3, s9
	s_cmp_ge_u32 s3, s9
	s_cselect_b32 s2, s6, s2
	s_cselect_b32 s3, s7, s3
	s_add_i32 s6, s2, 1
	s_cmp_ge_u32 s3, s9
	s_mov_b32 s3, 0
	s_cselect_b32 s2, s6, s2
.LBB32_5:
	v_mov_b32_e32 v1, 0
	s_add_u32 s2, s2, 1
	s_addc_u32 s3, s3, 0
	s_mul_hi_u32 s6, s8, s2
	s_mul_i32 s3, s8, s3
	v_mad_u64_u32 v[10:11], null, s10, s15, v[0:1]
	s_mul_hi_u32 s7, s11, s10
	s_add_i32 s3, s6, s3
	s_mul_i32 s7, s7, s2
	s_mul_i32 s2, s8, s2
	s_add_i32 s3, s3, s7
	s_mov_b32 s6, exec_lo
	s_lshl_b64 s[2:3], s[2:3], 2
	s_delay_alu instid0(SALU_CYCLE_1)
	v_cmpx_gt_i64_e64 s[2:3], v[10:11]
	s_cbranch_execz .LBB32_26
; %bb.6:
	s_load_b64 s[6:7], s[0:1], 0x40
	v_alignbit_b32 v21, v3, v2, 2
	v_lshrrev_b32_e32 v22, 2, v3
	s_waitcnt vmcnt(0)
	v_add_co_u32 v20, null, 0x9e3779b9, v8
	v_add_co_u32 v23, null, 0x3c6ef372, v8
	;; [unrolled: 1-line block ×4, first 2 shown]
	s_add_i32 s16, s15, s11
	s_lshl_b32 s14, s11, 1
	v_mov_b32_e32 v36, v9
	s_waitcnt lgkmcnt(0)
	v_cvt_f32_f64_e32 v12, s[6:7]
	s_mov_b32 s6, 0x3e9b6dac
	s_delay_alu instid0(VALU_DEP_1) | instskip(SKIP_1) | instid1(VALU_DEP_2)
	v_sub_f32_e32 v1, 1.0, v12
	v_cmp_gt_f32_e64 s13, 0x33800000, |v12|
	v_cvt_f64_f32_e32 v[4:5], v1
	s_delay_alu instid0(VALU_DEP_1) | instskip(SKIP_1) | instid1(VALU_DEP_1)
	v_frexp_exp_i32_f64_e32 v4, v[4:5]
	v_frexp_mant_f32_e32 v5, v1
	v_cmp_gt_f32_e32 vcc_lo, 0x3f2aaaab, v5
	v_add_f32_e32 v5, -1.0, v1
	s_delay_alu instid0(VALU_DEP_1) | instskip(SKIP_3) | instid1(VALU_DEP_2)
	v_sub_f32_e32 v7, v5, v1
	v_sub_f32_e64 v5, -v12, v5
	v_subrev_co_ci_u32_e32 v4, vcc_lo, 0, v4, vcc_lo
	v_cmp_eq_f32_e32 vcc_lo, 0xff800000, v12
	v_sub_nc_u32_e32 v6, 0, v4
	v_cvt_f32_i32_e32 v4, v4
	s_delay_alu instid0(VALU_DEP_2) | instskip(NEXT) | instid1(VALU_DEP_2)
	v_ldexp_f32 v1, v1, v6
	v_dual_add_f32 v7, 1.0, v7 :: v_dual_mul_f32 v26, 0x3f317218, v4
	s_delay_alu instid0(VALU_DEP_2) | instskip(NEXT) | instid1(VALU_DEP_2)
	v_add_f32_e32 v13, 1.0, v1
	v_add_f32_e32 v5, v5, v7
	s_delay_alu instid0(VALU_DEP_2) | instskip(NEXT) | instid1(VALU_DEP_2)
	v_add_f32_e32 v7, -1.0, v13
	v_ldexp_f32 v5, v5, v6
	s_delay_alu instid0(VALU_DEP_2) | instskip(NEXT) | instid1(VALU_DEP_1)
	v_dual_add_f32 v6, -1.0, v1 :: v_dual_sub_f32 v7, v1, v7
	v_dual_add_f32 v14, 1.0, v6 :: v_dual_add_f32 v7, v5, v7
	s_delay_alu instid0(VALU_DEP_1) | instskip(NEXT) | instid1(VALU_DEP_2)
	v_sub_f32_e32 v1, v1, v14
	v_add_f32_e32 v14, v13, v7
	s_delay_alu instid0(VALU_DEP_2) | instskip(NEXT) | instid1(VALU_DEP_2)
	v_add_f32_e32 v1, v5, v1
	v_rcp_f32_e32 v5, v14
	v_sub_f32_e32 v13, v14, v13
	s_delay_alu instid0(VALU_DEP_1) | instskip(NEXT) | instid1(VALU_DEP_3)
	v_sub_f32_e32 v7, v7, v13
	v_add_f32_e32 v15, v6, v1
	s_waitcnt_depctr 0xfff
	v_mul_f32_e32 v16, v15, v5
	s_delay_alu instid0(VALU_DEP_1) | instskip(NEXT) | instid1(VALU_DEP_1)
	v_dual_sub_f32 v6, v15, v6 :: v_dual_mul_f32 v17, v14, v16
	v_sub_f32_e32 v1, v1, v6
	s_delay_alu instid0(VALU_DEP_2) | instskip(NEXT) | instid1(VALU_DEP_1)
	v_fma_f32 v13, v16, v14, -v17
	v_fmac_f32_e32 v13, v16, v7
	s_delay_alu instid0(VALU_DEP_1) | instskip(NEXT) | instid1(VALU_DEP_1)
	v_add_f32_e32 v18, v17, v13
	v_sub_f32_e32 v19, v15, v18
	s_delay_alu instid0(VALU_DEP_1) | instskip(NEXT) | instid1(VALU_DEP_1)
	v_dual_sub_f32 v15, v15, v19 :: v_dual_sub_f32 v6, v18, v17
	v_dual_sub_f32 v15, v15, v18 :: v_dual_sub_f32 v6, v6, v13
	s_delay_alu instid0(VALU_DEP_1) | instskip(NEXT) | instid1(VALU_DEP_1)
	v_add_f32_e32 v1, v1, v15
	v_add_f32_e32 v1, v6, v1
	s_delay_alu instid0(VALU_DEP_1) | instskip(NEXT) | instid1(VALU_DEP_1)
	v_add_f32_e32 v6, v19, v1
	v_mul_f32_e32 v13, v5, v6
	v_sub_f32_e32 v18, v19, v6
	v_add_co_u32 v19, null, 0xdaa66d2b, v8
	s_delay_alu instid0(VALU_DEP_3) | instskip(NEXT) | instid1(VALU_DEP_3)
	v_mul_f32_e32 v15, v14, v13
	v_add_f32_e32 v1, v1, v18
	v_add_co_u32 v18, null, 0x1715609d, v8
	s_delay_alu instid0(VALU_DEP_3) | instskip(NEXT) | instid1(VALU_DEP_1)
	v_fma_f32 v14, v13, v14, -v15
	v_fmac_f32_e32 v14, v13, v7
	s_delay_alu instid0(VALU_DEP_1) | instskip(NEXT) | instid1(VALU_DEP_1)
	v_add_f32_e32 v7, v15, v14
	v_sub_f32_e32 v17, v6, v7
	s_delay_alu instid0(VALU_DEP_1) | instskip(NEXT) | instid1(VALU_DEP_1)
	v_dual_sub_f32 v15, v7, v15 :: v_dual_sub_f32 v6, v6, v17
	v_dual_sub_f32 v6, v6, v7 :: v_dual_sub_f32 v7, v15, v14
	v_add_nc_u32_e32 v15, 0x8ff34781, v8
	s_delay_alu instid0(VALU_DEP_2) | instskip(NEXT) | instid1(VALU_DEP_1)
	v_dual_add_f32 v1, v1, v6 :: v_dual_add_f32 v6, v16, v13
	v_add_f32_e32 v1, v7, v1
	s_delay_alu instid0(VALU_DEP_2) | instskip(NEXT) | instid1(VALU_DEP_2)
	v_dual_sub_f32 v7, v6, v16 :: v_dual_add_nc_u32 v16, 0x96a522ad, v9
	v_add_f32_e32 v1, v17, v1
	s_delay_alu instid0(VALU_DEP_2) | instskip(SKIP_1) | instid1(VALU_DEP_3)
	v_sub_f32_e32 v7, v13, v7
	v_add_co_u32 v17, null, 0x5384540f, v8
	v_mul_f32_e32 v1, v5, v1
	s_delay_alu instid0(VALU_DEP_1) | instskip(NEXT) | instid1(VALU_DEP_1)
	v_add_f32_e32 v1, v7, v1
	v_add_f32_e32 v5, v6, v1
	s_delay_alu instid0(VALU_DEP_1) | instskip(NEXT) | instid1(VALU_DEP_1)
	v_mul_f32_e32 v7, v5, v5
	v_fmaak_f32 v13, s6, v7, 0x3ecc95a3
	v_mul_f32_e32 v14, v5, v7
	s_clause 0x1
	s_load_b64 s[6:7], s[0:1], 0x30
	s_load_b32 s12, s[0:1], 0x38
	s_mov_b32 s0, 0
	s_lshl_b32 s1, s8, 1
	v_fmaak_f32 v7, v7, v13, 0x3f2aaada
	v_ldexp_f32 v13, v5, 1
	v_sub_f32_e32 v5, v5, v6
	s_delay_alu instid0(VALU_DEP_3) | instskip(NEXT) | instid1(VALU_DEP_2)
	v_dual_mul_f32 v7, v14, v7 :: v_dual_and_b32 v14, 3, v2
	v_sub_f32_e32 v1, v1, v5
	s_delay_alu instid0(VALU_DEP_2) | instskip(NEXT) | instid1(VALU_DEP_2)
	v_add_f32_e32 v6, v13, v7
	v_ldexp_f32 v1, v1, 1
	s_delay_alu instid0(VALU_DEP_2) | instskip(SKIP_1) | instid1(VALU_DEP_1)
	v_sub_f32_e32 v5, v6, v13
	v_fma_f32 v13, 0x3f317218, v4, -v26
	v_dual_sub_f32 v5, v7, v5 :: v_dual_fmamk_f32 v4, v4, 0xb102e308, v13
	s_delay_alu instid0(VALU_DEP_1) | instskip(NEXT) | instid1(VALU_DEP_2)
	v_add_f32_e32 v5, v1, v5
	v_add_f32_e32 v7, v26, v4
	v_mad_u64_u32 v[1:2], null, 0xcd9e8d57, v10, 0
	s_delay_alu instid0(VALU_DEP_3) | instskip(NEXT) | instid1(VALU_DEP_3)
	v_add_f32_e32 v13, v6, v5
	v_sub_f32_e32 v27, v7, v26
	v_add_co_u32 v26, null, 0xf1bbcdc8, v8
	s_delay_alu instid0(VALU_DEP_3) | instskip(SKIP_1) | instid1(VALU_DEP_4)
	v_add_f32_e32 v28, v7, v13
	v_sub_f32_e32 v6, v13, v6
	v_sub_f32_e32 v30, v4, v27
	v_xor3_b32 v2, v8, v2, v22
	v_add_co_u32 v27, null, 0xbb67ae85, v36
	s_delay_alu instid0(VALU_DEP_4) | instskip(NEXT) | instid1(VALU_DEP_1)
	v_dual_sub_f32 v3, v28, v7 :: v_dual_sub_f32 v6, v5, v6
	v_sub_f32_e32 v29, v28, v3
	v_sub_f32_e32 v5, v13, v3
	v_mad_u64_u32 v[3:4], null, 0xd2511f53, v21, 0
	v_log_f32_e32 v13, s0
	s_delay_alu instid0(VALU_DEP_3) | instskip(SKIP_1) | instid1(VALU_DEP_2)
	v_sub_f32_e32 v7, v7, v29
	v_add_f32_e32 v29, v30, v6
	v_add_f32_e32 v5, v5, v7
	s_delay_alu instid0(VALU_DEP_2)
	v_sub_f32_e32 v7, v29, v30
	v_xor_b32_e32 v32, v4, v9
	s_waitcnt_depctr 0xfff
	v_mul_f32_e32 v33, 0x3f317217, v13
	v_add_f32_e32 v31, v29, v5
	v_mad_u64_u32 v[4:5], null, 0xd2511f53, v2, 0
	v_sub_f32_e32 v2, v29, v7
	v_xor_b32_e32 v32, v32, v11
	s_delay_alu instid0(VALU_DEP_4) | instskip(SKIP_1) | instid1(VALU_DEP_4)
	v_add_f32_e32 v29, v28, v31
	v_sub_f32_e32 v6, v6, v7
	v_sub_f32_e32 v7, v30, v2
	v_xor3_b32 v30, v27, v5, v3
	s_delay_alu instid0(VALU_DEP_4) | instskip(SKIP_1) | instid1(VALU_DEP_4)
	v_sub_f32_e32 v28, v29, v28
	v_mad_u64_u32 v[2:3], null, 0xcd9e8d57, v32, 0
	v_add_f32_e32 v7, v6, v7
	s_delay_alu instid0(VALU_DEP_4) | instskip(NEXT) | instid1(VALU_DEP_4)
	v_mad_u64_u32 v[5:6], null, 0xcd9e8d57, v30, 0
	v_sub_f32_e32 v28, v31, v28
	v_fma_f32 v30, 0x3f317217, v13, -v33
	v_add_co_u32 v32, null, 0xa9066899, v36
	v_xor3_b32 v3, v20, v3, v1
	s_delay_alu instid0(VALU_DEP_4) | instskip(SKIP_2) | instid1(VALU_DEP_4)
	v_add_f32_e32 v7, v7, v28
	v_xor3_b32 v31, v23, v6, v2
	v_add_co_u32 v28, null, 0x76cf5d0a, v36
	v_mad_u64_u32 v[1:2], null, 0xd2511f53, v3, 0
	s_delay_alu instid0(VALU_DEP_4) | instskip(NEXT) | instid1(VALU_DEP_4)
	v_add_f32_e32 v29, v29, v7
	v_mad_u64_u32 v[6:7], null, 0xd2511f53, v31, 0
	v_fmac_f32_e32 v30, 0x3377d1cf, v13
	s_delay_alu instid0(VALU_DEP_3) | instskip(SKIP_3) | instid1(VALU_DEP_4)
	v_cndmask_b32_e64 v3, v29, -v12, vcc_lo
	v_cmp_nlt_f32_e32 vcc_lo, 1.0, v12
	v_add_co_u32 v29, null, 0x32370b8f, v36
	v_xor3_b32 v4, v28, v2, v4
	v_dual_add_f32 v30, v33, v30 :: v_dual_cndmask_b32 v3, 0x7fc00000, v3
	v_cmp_neq_f32_e32 vcc_lo, 1.0, v12
	s_delay_alu instid0(VALU_DEP_4) | instskip(NEXT) | instid1(VALU_DEP_4)
	v_xor3_b32 v7, v29, v7, v1
	v_mad_u64_u32 v[1:2], null, 0xcd9e8d57, v4, 0
	v_mov_b32_e32 v33, v10
	v_cndmask_b32_e32 v31, 0xff800000, v3, vcc_lo
	v_cmp_gt_f32_e64 vcc_lo, 0x7f800000, |v13|
	v_mad_u64_u32 v[3:4], null, 0xcd9e8d57, v7, 0
	v_xor3_b32 v2, v19, v2, v5
	v_cndmask_b32_e32 v37, v13, v30, vcc_lo
	v_cndmask_b32_e64 v30, v31, -v12, s13
	v_mad_u64_u32 v[12:13], null, s15, s10, v[0:1]
	s_delay_alu instid0(VALU_DEP_4) | instskip(NEXT) | instid1(VALU_DEP_3)
	v_mad_u64_u32 v[34:35], null, 0xd2511f53, v2, 0
	v_div_scale_f32 v13, null, v30, v30, v37
	v_add_co_u32 v31, null, 0xed9eba14, v36
	v_xor3_b32 v4, v24, v4, v1
	s_delay_alu instid0(VALU_DEP_3) | instskip(SKIP_1) | instid1(VALU_DEP_3)
	v_rcp_f32_e32 v38, v13
	v_div_scale_f32 v39, vcc_lo, v37, v30, v37
	v_xor3_b32 v6, v31, v35, v6
	s_delay_alu instid0(VALU_DEP_3) | instskip(SKIP_1) | instid1(VALU_DEP_3)
	v_mad_u64_u32 v[1:2], null, 0xd2511f53, v4, 0
	v_add_co_u32 v35, null, 0x1fd5c5a3, v36
	v_mad_u64_u32 v[4:5], null, 0xcd9e8d57, v6, 0
	s_waitcnt_depctr 0xfff
	v_fma_f32 v6, -v13, v38, 1.0
	s_mul_i32 s13, s11, 3
	v_xor3_b32 v7, v32, v2, v34
	s_add_i32 s13, s15, s13
	s_add_i32 s15, s15, s14
	v_fmac_f32_e32 v38, v6, v38
	v_xor3_b32 v34, v18, v5, v3
	v_mad_u64_u32 v[2:3], null, 0xcd9e8d57, v7, 0
	s_waitcnt lgkmcnt(0)
	s_mul_i32 s11, s11, s12
	v_mul_f32_e32 v42, v39, v38
	v_mad_u64_u32 v[5:6], null, 0xd2511f53, v34, 0
	v_add_co_u32 v34, null, 0x646e171e, v36
	s_delay_alu instid0(VALU_DEP_3) | instskip(SKIP_2) | instid1(VALU_DEP_4)
	v_fma_f32 v7, -v13, v42, v39
	v_xor3_b32 v40, v25, v3, v4
	v_add_co_u32 v36, null, 0xdb3d7428, v36
	v_xor3_b32 v1, v34, v6, v1
	s_delay_alu instid0(VALU_DEP_4) | instskip(NEXT) | instid1(VALU_DEP_4)
	v_fmac_f32_e32 v42, v7, v38
	v_mad_u64_u32 v[3:4], null, 0xd2511f53, v40, 0
	s_mul_i32 s11, s11, s10
	s_delay_alu instid0(VALU_DEP_3) | instskip(NEXT) | instid1(VALU_DEP_3)
	v_mad_u64_u32 v[6:7], null, 0xcd9e8d57, v1, 0
	v_fma_f32 v1, -v13, v42, v39
	s_lshl_b32 s11, s11, 2
	s_delay_alu instid0(VALU_DEP_3) | instskip(NEXT) | instid1(VALU_DEP_2)
	v_xor3_b32 v4, v35, v4, v5
	v_mad_u64_u32 v[40:41], null, s16, s10, v[0:1]
	v_div_fmas_f32 v1, v1, v38, v42
	v_xor3_b32 v5, v17, v7, v2
	s_delay_alu instid0(VALU_DEP_2) | instskip(SKIP_2) | instid1(VALU_DEP_3)
	v_div_fixup_f32 v7, v1, v30, v37
	v_mad_u64_u32 v[38:39], null, s13, s10, v[0:1]
	v_mad_u64_u32 v[1:2], null, 0xcd9e8d57, v4, 0
	v_ceil_f32_e32 v13, v7
	v_mad_u64_u32 v[41:42], null, 0xd2511f53, v5, 0
	v_mul_lo_u32 v37, s12, v12
	v_mul_lo_u32 v38, s12, v38
	s_delay_alu instid0(VALU_DEP_4)
	v_cmp_o_f32_e32 vcc_lo, v13, v13
	v_mad_u64_u32 v[43:44], null, s15, s10, v[0:1]
	v_bfe_u32 v0, v13, 16, 1
	v_xor3_b32 v2, v26, v2, v6
	v_xor3_b32 v3, v36, v42, v3
	v_mov_b32_e32 v42, v11
	v_mul_lo_u32 v40, s12, v40
	v_add_nc_u32_e32 v0, v13, v0
	v_mad_u64_u32 v[6:7], null, 0xd2511f53, v2, 0
	v_mad_u64_u32 v[4:5], null, 0xcd9e8d57, v3, 0
	s_delay_alu instid0(VALU_DEP_3) | instskip(SKIP_3) | instid1(VALU_DEP_2)
	v_add_nc_u32_e32 v0, 0x7fff, v0
	v_mul_lo_u32 v39, s12, v43
	s_mul_i32 s10, s8, 3
	s_mov_b32 s12, 0
	v_lshrrev_b32_e32 v0, 16, v0
	s_delay_alu instid0(VALU_DEP_4) | instskip(SKIP_1) | instid1(VALU_DEP_3)
	v_xor3_b32 v3, v5, v1, v15
	v_xor3_b32 v5, v7, v41, v16
	v_cndmask_b32_e32 v41, 0x7fc0, v0, vcc_lo
	s_branch .LBB32_8
.LBB32_7:                               ;   in Loop: Header=BB32_8 Depth=1
	s_or_b32 exec_lo, exec_lo, s13
	v_add_co_u32 v10, vcc_lo, v10, s9
	v_add_co_ci_u32_e32 v11, vcc_lo, 0, v11, vcc_lo
	v_mov_b32_e32 v3, v12
	s_add_i32 s12, s12, s11
	s_waitcnt_vscnt null, 0x0
	s_delay_alu instid0(VALU_DEP_2)
	v_cmp_le_i64_e32 vcc_lo, s[2:3], v[10:11]
	s_barrier
	v_mov_b32_e32 v6, v3
	v_dual_mov_b32 v5, v2 :: v_dual_mov_b32 v4, v1
	v_mov_b32_e32 v3, v0
	s_or_b32 s0, vcc_lo, s0
	buffer_gl0_inv
	s_and_not1_b32 exec_lo, exec_lo, s0
	s_cbranch_execz .LBB32_26
.LBB32_8:                               ; =>This Inner Loop Header: Depth=1
	v_add_co_u32 v21, vcc_lo, v21, 1
	s_delay_alu instid0(VALU_DEP_1) | instskip(SKIP_2) | instid1(VALU_DEP_1)
	v_cndmask_b32_e64 v0, 0, 1, vcc_lo
	v_add_co_ci_u32_e32 v22, vcc_lo, 0, v22, vcc_lo
	s_mov_b32 s13, exec_lo
	v_cmp_eq_u32_e32 vcc_lo, 0, v22
	s_delay_alu instid0(VALU_DEP_3) | instskip(NEXT) | instid1(VALU_DEP_1)
	v_cndmask_b32_e32 v0, 0, v0, vcc_lo
	v_add_nc_u32_e32 v33, v0, v33
	s_delay_alu instid0(VALU_DEP_1) | instskip(SKIP_2) | instid1(VALU_DEP_2)
	v_cmp_eq_u32_e32 vcc_lo, 0, v33
	v_cndmask_b32_e32 v0, 0, v0, vcc_lo
	v_mad_u64_u32 v[12:13], null, 0xcd9e8d57, v33, 0
	v_add_nc_u32_e32 v42, v0, v42
	v_mad_u64_u32 v[0:1], null, 0xd2511f53, v21, 0
	s_delay_alu instid0(VALU_DEP_3) | instskip(NEXT) | instid1(VALU_DEP_2)
	v_xor3_b32 v7, v13, v8, v22
	v_xor_b32_e32 v1, v1, v9
	s_delay_alu instid0(VALU_DEP_1) | instskip(NEXT) | instid1(VALU_DEP_3)
	v_xor_b32_e32 v13, v42, v1
	v_mad_u64_u32 v[1:2], null, 0xd2511f53, v7, 0
	s_delay_alu instid0(VALU_DEP_2) | instskip(NEXT) | instid1(VALU_DEP_2)
	v_mad_u64_u32 v[43:44], null, 0xcd9e8d57, v13, 0
	v_xor3_b32 v0, v27, v2, v0
	s_delay_alu instid0(VALU_DEP_2) | instskip(NEXT) | instid1(VALU_DEP_2)
	v_xor3_b32 v2, v20, v44, v12
	v_mad_u64_u32 v[12:13], null, 0xcd9e8d57, v0, 0
	s_delay_alu instid0(VALU_DEP_2) | instskip(NEXT) | instid1(VALU_DEP_2)
	v_mad_u64_u32 v[44:45], null, 0xd2511f53, v2, 0
	v_xor3_b32 v2, v23, v13, v43
	s_delay_alu instid0(VALU_DEP_2) | instskip(NEXT) | instid1(VALU_DEP_2)
	v_xor3_b32 v7, v28, v45, v1
	;; [unrolled: 6-line block ×9, first 2 shown]
	v_mov_b32_e32 v2, v7
	v_cmpx_lt_i32_e32 1, v14
	s_xor_b32 s13, exec_lo, s13
	s_cbranch_execnz .LBB32_18
; %bb.9:                                ;   in Loop: Header=BB32_8 Depth=1
	s_and_not1_saveexec_b32 s13, s13
	s_cbranch_execnz .LBB32_23
.LBB32_10:                              ;   in Loop: Header=BB32_8 Depth=1
	s_or_b32 exec_lo, exec_lo, s13
	s_delay_alu instid0(SALU_CYCLE_1)
	s_mov_b32 s13, exec_lo
	v_cmpx_gt_i64_e64 s[4:5], v[10:11]
	s_cbranch_execz .LBB32_12
.LBB32_11:                              ;   in Loop: Header=BB32_8 Depth=1
	v_lshrrev_b32_e32 v4, 11, v4
	s_delay_alu instid0(VALU_DEP_1) | instskip(SKIP_1) | instid1(VALU_DEP_2)
	v_cvt_f64_u32_e32 v[43:44], v4
	v_cvt_f64_u32_e32 v[3:4], v3
	v_ldexp_f64 v[43:44], v[43:44], 32
	s_delay_alu instid0(VALU_DEP_1) | instskip(NEXT) | instid1(VALU_DEP_1)
	v_add_f64 v[3:4], v[43:44], v[3:4]
	v_fma_f64 v[3:4], 0x3ca00000, v[3:4], 0x3ca00000
	s_delay_alu instid0(VALU_DEP_1) | instskip(NEXT) | instid1(VALU_DEP_1)
	v_cvt_f32_f64_e32 v3, v[3:4]
	v_cmp_gt_f32_e32 vcc_lo, 0x800000, v3
	v_cndmask_b32_e64 v4, 1.0, 0x4f800000, vcc_lo
	s_delay_alu instid0(VALU_DEP_1) | instskip(NEXT) | instid1(VALU_DEP_1)
	v_mul_f32_e32 v3, v3, v4
	v_log_f32_e32 v3, v3
	s_waitcnt_depctr 0xfff
	v_mul_f32_e32 v4, 0x3f317217, v3
	s_delay_alu instid0(VALU_DEP_1) | instskip(NEXT) | instid1(VALU_DEP_1)
	v_fma_f32 v7, 0x3f317217, v3, -v4
	v_fmac_f32_e32 v7, 0x3377d1cf, v3
	s_delay_alu instid0(VALU_DEP_1) | instskip(SKIP_2) | instid1(VALU_DEP_3)
	v_add_f32_e32 v4, v4, v7
	v_cndmask_b32_e64 v7, 0, 0x41b17218, vcc_lo
	v_cmp_gt_f32_e64 vcc_lo, 0x7f800000, |v3|
	v_cndmask_b32_e32 v3, v3, v4, vcc_lo
	s_delay_alu instid0(VALU_DEP_1) | instskip(NEXT) | instid1(VALU_DEP_1)
	v_sub_f32_e32 v3, v3, v7
	v_div_scale_f32 v4, null, v30, v30, v3
	v_div_scale_f32 v43, vcc_lo, v3, v30, v3
	s_delay_alu instid0(VALU_DEP_2) | instskip(SKIP_2) | instid1(VALU_DEP_1)
	v_rcp_f32_e32 v7, v4
	s_waitcnt_depctr 0xfff
	v_fma_f32 v13, -v4, v7, 1.0
	v_fmac_f32_e32 v7, v13, v7
	s_delay_alu instid0(VALU_DEP_1) | instskip(NEXT) | instid1(VALU_DEP_1)
	v_mul_f32_e32 v13, v43, v7
	v_fma_f32 v44, -v4, v13, v43
	s_delay_alu instid0(VALU_DEP_1) | instskip(NEXT) | instid1(VALU_DEP_1)
	v_fmac_f32_e32 v13, v44, v7
	v_fma_f32 v4, -v4, v13, v43
	s_delay_alu instid0(VALU_DEP_1) | instskip(NEXT) | instid1(VALU_DEP_1)
	v_div_fmas_f32 v4, v4, v7, v13
	v_div_fixup_f32 v3, v4, v30, v3
	v_add_nc_u32_e32 v4, s12, v37
	s_delay_alu instid0(VALU_DEP_2) | instskip(NEXT) | instid1(VALU_DEP_2)
	v_ceil_f32_e32 v7, v3
	v_ashrrev_i32_e32 v13, 31, v4
	s_delay_alu instid0(VALU_DEP_2) | instskip(NEXT) | instid1(VALU_DEP_1)
	v_bfe_u32 v3, v7, 16, 1
	v_add3_u32 v3, v7, v3, 0x7fff
	s_delay_alu instid0(VALU_DEP_1) | instskip(SKIP_3) | instid1(VALU_DEP_4)
	v_lshrrev_b32_e32 v43, 16, v3
	v_add_co_u32 v3, vcc_lo, s6, v4
	v_add_co_ci_u32_e32 v4, vcc_lo, s7, v13, vcc_lo
	v_cmp_o_f32_e32 vcc_lo, v7, v7
	v_cndmask_b32_e32 v7, 0x7fc0, v43, vcc_lo
	global_store_b16 v[3:4], v7, off
.LBB32_12:                              ;   in Loop: Header=BB32_8 Depth=1
	s_or_b32 exec_lo, exec_lo, s13
	v_add_co_u32 v3, vcc_lo, s8, v10
	v_add_co_ci_u32_e32 v4, vcc_lo, 0, v11, vcc_lo
	s_mov_b32 s13, exec_lo
	s_delay_alu instid0(VALU_DEP_1)
	v_cmpx_gt_i64_e64 s[4:5], v[3:4]
	s_cbranch_execz .LBB32_14
; %bb.13:                               ;   in Loop: Header=BB32_8 Depth=1
	v_lshrrev_b32_e32 v3, 11, v6
	v_cvt_f64_u32_e32 v[5:6], v5
	s_delay_alu instid0(VALU_DEP_2) | instskip(NEXT) | instid1(VALU_DEP_1)
	v_cvt_f64_u32_e32 v[3:4], v3
	v_ldexp_f64 v[3:4], v[3:4], 32
	s_delay_alu instid0(VALU_DEP_1) | instskip(NEXT) | instid1(VALU_DEP_1)
	v_add_f64 v[3:4], v[3:4], v[5:6]
	v_fma_f64 v[3:4], 0x3ca00000, v[3:4], 0x3ca00000
	s_delay_alu instid0(VALU_DEP_1) | instskip(NEXT) | instid1(VALU_DEP_1)
	v_cvt_f32_f64_e32 v3, v[3:4]
	v_cmp_gt_f32_e32 vcc_lo, 0x800000, v3
	v_cndmask_b32_e64 v4, 1.0, 0x4f800000, vcc_lo
	s_delay_alu instid0(VALU_DEP_1) | instskip(NEXT) | instid1(VALU_DEP_1)
	v_mul_f32_e32 v3, v3, v4
	v_log_f32_e32 v3, v3
	s_waitcnt_depctr 0xfff
	v_mul_f32_e32 v4, 0x3f317217, v3
	s_delay_alu instid0(VALU_DEP_1) | instskip(NEXT) | instid1(VALU_DEP_1)
	v_fma_f32 v5, 0x3f317217, v3, -v4
	v_fmac_f32_e32 v5, 0x3377d1cf, v3
	s_delay_alu instid0(VALU_DEP_1) | instskip(SKIP_2) | instid1(VALU_DEP_3)
	v_add_f32_e32 v4, v4, v5
	v_cndmask_b32_e64 v5, 0, 0x41b17218, vcc_lo
	v_cmp_gt_f32_e64 vcc_lo, 0x7f800000, |v3|
	v_cndmask_b32_e32 v3, v3, v4, vcc_lo
	s_delay_alu instid0(VALU_DEP_1) | instskip(NEXT) | instid1(VALU_DEP_1)
	v_sub_f32_e32 v3, v3, v5
	v_div_scale_f32 v4, null, v30, v30, v3
	v_div_scale_f32 v7, vcc_lo, v3, v30, v3
	s_delay_alu instid0(VALU_DEP_2) | instskip(SKIP_2) | instid1(VALU_DEP_1)
	v_rcp_f32_e32 v5, v4
	s_waitcnt_depctr 0xfff
	v_fma_f32 v6, -v4, v5, 1.0
	v_fmac_f32_e32 v5, v6, v5
	s_delay_alu instid0(VALU_DEP_1) | instskip(NEXT) | instid1(VALU_DEP_1)
	v_mul_f32_e32 v6, v7, v5
	v_fma_f32 v13, -v4, v6, v7
	s_delay_alu instid0(VALU_DEP_1) | instskip(NEXT) | instid1(VALU_DEP_1)
	v_fmac_f32_e32 v6, v13, v5
	v_fma_f32 v4, -v4, v6, v7
	s_delay_alu instid0(VALU_DEP_1) | instskip(NEXT) | instid1(VALU_DEP_1)
	v_div_fmas_f32 v4, v4, v5, v6
	v_div_fixup_f32 v3, v4, v30, v3
	v_add_nc_u32_e32 v4, s12, v40
	s_delay_alu instid0(VALU_DEP_2) | instskip(NEXT) | instid1(VALU_DEP_2)
	v_ceil_f32_e32 v5, v3
	v_ashrrev_i32_e32 v6, 31, v4
	s_delay_alu instid0(VALU_DEP_2) | instskip(NEXT) | instid1(VALU_DEP_1)
	v_bfe_u32 v3, v5, 16, 1
	v_add3_u32 v3, v5, v3, 0x7fff
	s_delay_alu instid0(VALU_DEP_1) | instskip(SKIP_3) | instid1(VALU_DEP_4)
	v_lshrrev_b32_e32 v7, 16, v3
	v_add_co_u32 v3, vcc_lo, s6, v4
	v_add_co_ci_u32_e32 v4, vcc_lo, s7, v6, vcc_lo
	v_cmp_o_f32_e32 vcc_lo, v5, v5
	v_cndmask_b32_e32 v5, 0x7fc0, v7, vcc_lo
	global_store_b16 v[3:4], v5, off
.LBB32_14:                              ;   in Loop: Header=BB32_8 Depth=1
	s_or_b32 exec_lo, exec_lo, s13
	v_add_co_u32 v3, vcc_lo, s1, v10
	v_add_co_ci_u32_e32 v4, vcc_lo, 0, v11, vcc_lo
	s_mov_b32 s13, exec_lo
	s_delay_alu instid0(VALU_DEP_1)
	v_cmpx_gt_i64_e64 s[4:5], v[3:4]
	s_cbranch_execz .LBB32_16
; %bb.15:                               ;   in Loop: Header=BB32_8 Depth=1
	v_add_nc_u32_e32 v3, s12, v39
	s_delay_alu instid0(VALU_DEP_1) | instskip(SKIP_1) | instid1(VALU_DEP_2)
	v_ashrrev_i32_e32 v4, 31, v3
	v_add_co_u32 v3, vcc_lo, s6, v3
	v_add_co_ci_u32_e32 v4, vcc_lo, s7, v4, vcc_lo
	global_store_b16 v[3:4], v41, off
.LBB32_16:                              ;   in Loop: Header=BB32_8 Depth=1
	s_or_b32 exec_lo, exec_lo, s13
	v_add_co_u32 v3, vcc_lo, s10, v10
	v_add_co_ci_u32_e32 v4, vcc_lo, 0, v11, vcc_lo
	s_mov_b32 s13, exec_lo
	s_delay_alu instid0(VALU_DEP_1)
	v_cmpx_gt_i64_e64 s[4:5], v[3:4]
	s_cbranch_execz .LBB32_7
; %bb.17:                               ;   in Loop: Header=BB32_8 Depth=1
	v_add_nc_u32_e32 v3, s12, v38
	s_delay_alu instid0(VALU_DEP_1) | instskip(SKIP_1) | instid1(VALU_DEP_2)
	v_ashrrev_i32_e32 v4, 31, v3
	v_add_co_u32 v3, vcc_lo, s6, v3
	v_add_co_ci_u32_e32 v4, vcc_lo, s7, v4, vcc_lo
	global_store_b16 v[3:4], v41, off
	s_branch .LBB32_7
.LBB32_18:                              ;   in Loop: Header=BB32_8 Depth=1
	s_mov_b32 s14, exec_lo
	v_cmpx_lt_i32_e32 2, v14
	s_xor_b32 s14, exec_lo, s14
; %bb.19:                               ;   in Loop: Header=BB32_8 Depth=1
	v_dual_mov_b32 v4, v6 :: v_dual_mov_b32 v5, v0
	v_mov_b32_e32 v6, v1
	s_delay_alu instid0(VALU_DEP_2) | instskip(NEXT) | instid1(VALU_DEP_3)
	v_mov_b32_e32 v3, v4
	v_mov_b32_e32 v4, v5
	s_delay_alu instid0(VALU_DEP_3)
	v_mov_b32_e32 v5, v6
	v_mov_b32_e32 v6, v7
; %bb.20:                               ;   in Loop: Header=BB32_8 Depth=1
	s_and_not1_saveexec_b32 s14, s14
; %bb.21:                               ;   in Loop: Header=BB32_8 Depth=1
	s_delay_alu instid0(VALU_DEP_1)
	v_dual_mov_b32 v3, v5 :: v_dual_mov_b32 v4, v6
	v_dual_mov_b32 v5, v0 :: v_dual_mov_b32 v6, v1
; %bb.22:                               ;   in Loop: Header=BB32_8 Depth=1
	s_or_b32 exec_lo, exec_lo, s14
	s_and_not1_saveexec_b32 s13, s13
	s_cbranch_execz .LBB32_10
.LBB32_23:                              ;   in Loop: Header=BB32_8 Depth=1
	s_mov_b32 s14, exec_lo
	v_cmpx_eq_u32_e32 1, v14
; %bb.24:                               ;   in Loop: Header=BB32_8 Depth=1
	v_dual_mov_b32 v3, v4 :: v_dual_mov_b32 v4, v5
	v_dual_mov_b32 v5, v6 :: v_dual_mov_b32 v6, v0
; %bb.25:                               ;   in Loop: Header=BB32_8 Depth=1
	s_or_b32 exec_lo, exec_lo, s14
	s_delay_alu instid0(SALU_CYCLE_1) | instskip(NEXT) | instid1(SALU_CYCLE_1)
	s_or_b32 exec_lo, exec_lo, s13
	s_mov_b32 s13, exec_lo
	v_cmpx_gt_i64_e64 s[4:5], v[10:11]
	s_cbranch_execnz .LBB32_11
	s_branch .LBB32_12
.LBB32_26:
	s_endpgm
.LBB32_27:
                                        ; implicit-def: $sgpr2_sgpr3
	s_branch .LBB32_4
	.section	.rodata,"a",@progbits
	.p2align	6, 0x0
	.amdhsa_kernel _ZN2at6native12_GLOBAL__N_143distribution_elementwise_grid_stride_kernelIfLi4EZNS0_9templates4cuda21uniform_and_transformIN3c108BFloat16EfPNS_17CUDAGeneratorImplEZZZNS4_16geometric_kernelIS9_EEvRNS_18TensorIteratorBaseEdT_ENKUlvE_clEvENKUlvE7_clEvEUlfE_EEvSC_T1_T2_EUlP25hiprandStatePhilox4_32_10E_ZNS1_27distribution_nullary_kernelIS7_f15HIP_vector_typeIdLj2EES9_SL_SG_EEvSC_SI_RKT3_T4_EUlifE_EEvlNS_15PhiloxCudaStateESH_SI_
		.amdhsa_group_segment_fixed_size 0
		.amdhsa_private_segment_fixed_size 0
		.amdhsa_kernarg_size 328
		.amdhsa_user_sgpr_count 15
		.amdhsa_user_sgpr_dispatch_ptr 0
		.amdhsa_user_sgpr_queue_ptr 0
		.amdhsa_user_sgpr_kernarg_segment_ptr 1
		.amdhsa_user_sgpr_dispatch_id 0
		.amdhsa_user_sgpr_private_segment_size 0
		.amdhsa_wavefront_size32 1
		.amdhsa_uses_dynamic_stack 0
		.amdhsa_enable_private_segment 0
		.amdhsa_system_sgpr_workgroup_id_x 1
		.amdhsa_system_sgpr_workgroup_id_y 0
		.amdhsa_system_sgpr_workgroup_id_z 0
		.amdhsa_system_sgpr_workgroup_info 0
		.amdhsa_system_vgpr_workitem_id 0
		.amdhsa_next_free_vgpr 48
		.amdhsa_next_free_sgpr 23
		.amdhsa_reserve_vcc 1
		.amdhsa_float_round_mode_32 0
		.amdhsa_float_round_mode_16_64 0
		.amdhsa_float_denorm_mode_32 3
		.amdhsa_float_denorm_mode_16_64 3
		.amdhsa_dx10_clamp 1
		.amdhsa_ieee_mode 1
		.amdhsa_fp16_overflow 0
		.amdhsa_workgroup_processor_mode 1
		.amdhsa_memory_ordered 1
		.amdhsa_forward_progress 0
		.amdhsa_shared_vgpr_count 0
		.amdhsa_exception_fp_ieee_invalid_op 0
		.amdhsa_exception_fp_denorm_src 0
		.amdhsa_exception_fp_ieee_div_zero 0
		.amdhsa_exception_fp_ieee_overflow 0
		.amdhsa_exception_fp_ieee_underflow 0
		.amdhsa_exception_fp_ieee_inexact 0
		.amdhsa_exception_int_div_zero 0
	.end_amdhsa_kernel
	.section	.text._ZN2at6native12_GLOBAL__N_143distribution_elementwise_grid_stride_kernelIfLi4EZNS0_9templates4cuda21uniform_and_transformIN3c108BFloat16EfPNS_17CUDAGeneratorImplEZZZNS4_16geometric_kernelIS9_EEvRNS_18TensorIteratorBaseEdT_ENKUlvE_clEvENKUlvE7_clEvEUlfE_EEvSC_T1_T2_EUlP25hiprandStatePhilox4_32_10E_ZNS1_27distribution_nullary_kernelIS7_f15HIP_vector_typeIdLj2EES9_SL_SG_EEvSC_SI_RKT3_T4_EUlifE_EEvlNS_15PhiloxCudaStateESH_SI_,"axG",@progbits,_ZN2at6native12_GLOBAL__N_143distribution_elementwise_grid_stride_kernelIfLi4EZNS0_9templates4cuda21uniform_and_transformIN3c108BFloat16EfPNS_17CUDAGeneratorImplEZZZNS4_16geometric_kernelIS9_EEvRNS_18TensorIteratorBaseEdT_ENKUlvE_clEvENKUlvE7_clEvEUlfE_EEvSC_T1_T2_EUlP25hiprandStatePhilox4_32_10E_ZNS1_27distribution_nullary_kernelIS7_f15HIP_vector_typeIdLj2EES9_SL_SG_EEvSC_SI_RKT3_T4_EUlifE_EEvlNS_15PhiloxCudaStateESH_SI_,comdat
.Lfunc_end32:
	.size	_ZN2at6native12_GLOBAL__N_143distribution_elementwise_grid_stride_kernelIfLi4EZNS0_9templates4cuda21uniform_and_transformIN3c108BFloat16EfPNS_17CUDAGeneratorImplEZZZNS4_16geometric_kernelIS9_EEvRNS_18TensorIteratorBaseEdT_ENKUlvE_clEvENKUlvE7_clEvEUlfE_EEvSC_T1_T2_EUlP25hiprandStatePhilox4_32_10E_ZNS1_27distribution_nullary_kernelIS7_f15HIP_vector_typeIdLj2EES9_SL_SG_EEvSC_SI_RKT3_T4_EUlifE_EEvlNS_15PhiloxCudaStateESH_SI_, .Lfunc_end32-_ZN2at6native12_GLOBAL__N_143distribution_elementwise_grid_stride_kernelIfLi4EZNS0_9templates4cuda21uniform_and_transformIN3c108BFloat16EfPNS_17CUDAGeneratorImplEZZZNS4_16geometric_kernelIS9_EEvRNS_18TensorIteratorBaseEdT_ENKUlvE_clEvENKUlvE7_clEvEUlfE_EEvSC_T1_T2_EUlP25hiprandStatePhilox4_32_10E_ZNS1_27distribution_nullary_kernelIS7_f15HIP_vector_typeIdLj2EES9_SL_SG_EEvSC_SI_RKT3_T4_EUlifE_EEvlNS_15PhiloxCudaStateESH_SI_
                                        ; -- End function
	.section	.AMDGPU.csdata,"",@progbits
; Kernel info:
; codeLenInByte = 4292
; NumSgprs: 25
; NumVgprs: 48
; ScratchSize: 0
; MemoryBound: 0
; FloatMode: 240
; IeeeMode: 1
; LDSByteSize: 0 bytes/workgroup (compile time only)
; SGPRBlocks: 3
; VGPRBlocks: 5
; NumSGPRsForWavesPerEU: 25
; NumVGPRsForWavesPerEU: 48
; Occupancy: 16
; WaveLimiterHint : 0
; COMPUTE_PGM_RSRC2:SCRATCH_EN: 0
; COMPUTE_PGM_RSRC2:USER_SGPR: 15
; COMPUTE_PGM_RSRC2:TRAP_HANDLER: 0
; COMPUTE_PGM_RSRC2:TGID_X_EN: 1
; COMPUTE_PGM_RSRC2:TGID_Y_EN: 0
; COMPUTE_PGM_RSRC2:TGID_Z_EN: 0
; COMPUTE_PGM_RSRC2:TIDIG_COMP_CNT: 0
	.section	.text._ZN2at6native12_GLOBAL__N_143distribution_elementwise_grid_stride_kernelIfLi4EZNS0_9templates4cuda21uniform_and_transformIN3c108BFloat16EfPNS_17CUDAGeneratorImplEZZZNS4_16geometric_kernelIS9_EEvRNS_18TensorIteratorBaseEdT_ENKUlvE_clEvENKUlvE7_clEvEUlfE_EEvSC_T1_T2_EUlP25hiprandStatePhilox4_32_10E_ZNS1_27distribution_nullary_kernelIS7_f15HIP_vector_typeIdLj2EES9_SL_SG_EEvSC_SI_RKT3_T4_EUlifE0_EEvlNS_15PhiloxCudaStateESH_SI_,"axG",@progbits,_ZN2at6native12_GLOBAL__N_143distribution_elementwise_grid_stride_kernelIfLi4EZNS0_9templates4cuda21uniform_and_transformIN3c108BFloat16EfPNS_17CUDAGeneratorImplEZZZNS4_16geometric_kernelIS9_EEvRNS_18TensorIteratorBaseEdT_ENKUlvE_clEvENKUlvE7_clEvEUlfE_EEvSC_T1_T2_EUlP25hiprandStatePhilox4_32_10E_ZNS1_27distribution_nullary_kernelIS7_f15HIP_vector_typeIdLj2EES9_SL_SG_EEvSC_SI_RKT3_T4_EUlifE0_EEvlNS_15PhiloxCudaStateESH_SI_,comdat
	.globl	_ZN2at6native12_GLOBAL__N_143distribution_elementwise_grid_stride_kernelIfLi4EZNS0_9templates4cuda21uniform_and_transformIN3c108BFloat16EfPNS_17CUDAGeneratorImplEZZZNS4_16geometric_kernelIS9_EEvRNS_18TensorIteratorBaseEdT_ENKUlvE_clEvENKUlvE7_clEvEUlfE_EEvSC_T1_T2_EUlP25hiprandStatePhilox4_32_10E_ZNS1_27distribution_nullary_kernelIS7_f15HIP_vector_typeIdLj2EES9_SL_SG_EEvSC_SI_RKT3_T4_EUlifE0_EEvlNS_15PhiloxCudaStateESH_SI_ ; -- Begin function _ZN2at6native12_GLOBAL__N_143distribution_elementwise_grid_stride_kernelIfLi4EZNS0_9templates4cuda21uniform_and_transformIN3c108BFloat16EfPNS_17CUDAGeneratorImplEZZZNS4_16geometric_kernelIS9_EEvRNS_18TensorIteratorBaseEdT_ENKUlvE_clEvENKUlvE7_clEvEUlfE_EEvSC_T1_T2_EUlP25hiprandStatePhilox4_32_10E_ZNS1_27distribution_nullary_kernelIS7_f15HIP_vector_typeIdLj2EES9_SL_SG_EEvSC_SI_RKT3_T4_EUlifE0_EEvlNS_15PhiloxCudaStateESH_SI_
	.p2align	8
	.type	_ZN2at6native12_GLOBAL__N_143distribution_elementwise_grid_stride_kernelIfLi4EZNS0_9templates4cuda21uniform_and_transformIN3c108BFloat16EfPNS_17CUDAGeneratorImplEZZZNS4_16geometric_kernelIS9_EEvRNS_18TensorIteratorBaseEdT_ENKUlvE_clEvENKUlvE7_clEvEUlfE_EEvSC_T1_T2_EUlP25hiprandStatePhilox4_32_10E_ZNS1_27distribution_nullary_kernelIS7_f15HIP_vector_typeIdLj2EES9_SL_SG_EEvSC_SI_RKT3_T4_EUlifE0_EEvlNS_15PhiloxCudaStateESH_SI_,@function
_ZN2at6native12_GLOBAL__N_143distribution_elementwise_grid_stride_kernelIfLi4EZNS0_9templates4cuda21uniform_and_transformIN3c108BFloat16EfPNS_17CUDAGeneratorImplEZZZNS4_16geometric_kernelIS9_EEvRNS_18TensorIteratorBaseEdT_ENKUlvE_clEvENKUlvE7_clEvEUlfE_EEvSC_T1_T2_EUlP25hiprandStatePhilox4_32_10E_ZNS1_27distribution_nullary_kernelIS7_f15HIP_vector_typeIdLj2EES9_SL_SG_EEvSC_SI_RKT3_T4_EUlifE0_EEvlNS_15PhiloxCudaStateESH_SI_: ; @_ZN2at6native12_GLOBAL__N_143distribution_elementwise_grid_stride_kernelIfLi4EZNS0_9templates4cuda21uniform_and_transformIN3c108BFloat16EfPNS_17CUDAGeneratorImplEZZZNS4_16geometric_kernelIS9_EEvRNS_18TensorIteratorBaseEdT_ENKUlvE_clEvENKUlvE7_clEvEUlfE_EEvSC_T1_T2_EUlP25hiprandStatePhilox4_32_10E_ZNS1_27distribution_nullary_kernelIS7_f15HIP_vector_typeIdLj2EES9_SL_SG_EEvSC_SI_RKT3_T4_EUlifE0_EEvlNS_15PhiloxCudaStateESH_SI_
; %bb.0:
	s_clause 0x2
	s_load_b64 s[4:5], s[0:1], 0x10
	s_load_b128 s[16:19], s[0:1], 0x0
	s_load_b32 s2, s[0:1], 0x20
	s_waitcnt lgkmcnt(0)
	v_dual_mov_b32 v2, s4 :: v_dual_mov_b32 v3, s5
	v_dual_mov_b32 v8, s18 :: v_dual_mov_b32 v9, s19
	s_bitcmp0_b32 s2, 0
	s_mov_b32 s2, 0
	s_cbranch_scc1 .LBB33_2
; %bb.1:
	v_dual_mov_b32 v1, s4 :: v_dual_mov_b32 v2, s5
	v_dual_mov_b32 v4, s18 :: v_dual_mov_b32 v5, s19
	s_load_b64 s[4:5], s[0:1], 0x18
	flat_load_b64 v[2:3], v[1:2]
	flat_load_b64 v[8:9], v[4:5]
	s_waitcnt vmcnt(1) lgkmcnt(0)
	v_add_co_u32 v2, vcc_lo, v2, s4
	v_add_co_ci_u32_e32 v3, vcc_lo, s5, v3, vcc_lo
.LBB33_2:
	s_clause 0x1
	s_load_b32 s3, s[0:1], 0x154
	s_load_b32 s4, s[0:1], 0x148
	s_waitcnt lgkmcnt(0)
	s_and_b32 s5, s3, 0xffff
	s_add_u32 s6, s16, -1
	s_mul_i32 s24, s4, s5
	s_addc_u32 s3, s17, -1
	s_lshl_b32 s25, s24, 2
	s_cmp_lg_u64 s[2:3], 0
	s_cbranch_scc0 .LBB33_79
; %bb.3:
	v_cvt_f32_ubyte0_e32 v1, 0
	v_cvt_f32_u32_e32 v4, s25
	s_sub_u32 s8, 0, s25
	s_subb_u32 s9, 0, 0
	s_delay_alu instid0(VALU_DEP_1) | instskip(NEXT) | instid1(VALU_DEP_1)
	v_fmamk_f32 v1, v1, 0x4f800000, v4
	v_rcp_f32_e32 v1, v1
	s_waitcnt_depctr 0xfff
	v_mul_f32_e32 v1, 0x5f7ffffc, v1
	s_delay_alu instid0(VALU_DEP_1) | instskip(NEXT) | instid1(VALU_DEP_1)
	v_mul_f32_e32 v4, 0x2f800000, v1
	v_trunc_f32_e32 v4, v4
	s_delay_alu instid0(VALU_DEP_1) | instskip(SKIP_1) | instid1(VALU_DEP_2)
	v_fmamk_f32 v1, v4, 0xcf800000, v1
	v_cvt_u32_f32_e32 v4, v4
	v_cvt_u32_f32_e32 v1, v1
	s_delay_alu instid0(VALU_DEP_2) | instskip(NEXT) | instid1(VALU_DEP_2)
	v_readfirstlane_b32 s2, v4
	v_readfirstlane_b32 s7, v1
	s_delay_alu instid0(VALU_DEP_2) | instskip(NEXT) | instid1(VALU_DEP_1)
	s_mul_i32 s10, s8, s2
	s_mul_hi_u32 s12, s8, s7
	s_mul_i32 s11, s9, s7
	s_add_i32 s10, s12, s10
	s_mul_i32 s13, s8, s7
	s_add_i32 s10, s10, s11
	s_mul_hi_u32 s12, s7, s13
	s_mul_hi_u32 s14, s2, s13
	s_mul_i32 s11, s2, s13
	s_mul_hi_u32 s13, s7, s10
	s_mul_i32 s7, s7, s10
	s_mul_hi_u32 s18, s2, s10
	s_add_u32 s7, s12, s7
	s_addc_u32 s12, 0, s13
	s_add_u32 s7, s7, s11
	s_mul_i32 s10, s2, s10
	s_addc_u32 s7, s12, s14
	s_addc_u32 s11, s18, 0
	s_add_u32 s7, s7, s10
	s_addc_u32 s10, 0, s11
	v_add_co_u32 v1, s7, v1, s7
	s_delay_alu instid0(VALU_DEP_1) | instskip(SKIP_1) | instid1(VALU_DEP_1)
	s_cmp_lg_u32 s7, 0
	s_addc_u32 s2, s2, s10
	v_readfirstlane_b32 s7, v1
	s_mul_i32 s10, s8, s2
	s_delay_alu instid0(VALU_DEP_1)
	s_mul_hi_u32 s11, s8, s7
	s_mul_i32 s9, s9, s7
	s_add_i32 s10, s11, s10
	s_mul_i32 s8, s8, s7
	s_add_i32 s10, s10, s9
	s_mul_hi_u32 s11, s2, s8
	s_mul_i32 s12, s2, s8
	s_mul_hi_u32 s8, s7, s8
	s_mul_hi_u32 s13, s7, s10
	s_mul_i32 s7, s7, s10
	s_mul_hi_u32 s9, s2, s10
	s_add_u32 s7, s8, s7
	s_addc_u32 s8, 0, s13
	s_add_u32 s7, s7, s12
	s_mul_i32 s10, s2, s10
	s_addc_u32 s7, s8, s11
	s_addc_u32 s8, s9, 0
	s_add_u32 s7, s7, s10
	s_addc_u32 s8, 0, s8
	v_add_co_u32 v1, s7, v1, s7
	s_delay_alu instid0(VALU_DEP_1) | instskip(SKIP_2) | instid1(VALU_DEP_1)
	s_cmp_lg_u32 s7, 0
	s_addc_u32 s7, s2, s8
	s_ashr_i32 s8, s3, 31
	v_readfirstlane_b32 s10, v1
	s_add_u32 s2, s6, s8
	s_mov_b32 s9, s8
	s_addc_u32 s3, s3, s8
	s_delay_alu instid0(SALU_CYCLE_1) | instskip(NEXT) | instid1(SALU_CYCLE_1)
	s_xor_b64 s[2:3], s[2:3], s[8:9]
	s_mul_i32 s12, s2, s7
	s_mul_hi_u32 s13, s2, s10
	s_mul_hi_u32 s11, s2, s7
	;; [unrolled: 1-line block ×3, first 2 shown]
	s_mul_i32 s10, s3, s10
	s_add_u32 s12, s13, s12
	s_addc_u32 s11, 0, s11
	s_mul_hi_u32 s14, s3, s7
	s_add_u32 s10, s12, s10
	s_mul_i32 s7, s3, s7
	s_addc_u32 s10, s11, s18
	s_addc_u32 s11, s14, 0
	s_add_u32 s7, s10, s7
	s_addc_u32 s10, 0, s11
	s_mul_i32 s12, s25, s7
	s_add_u32 s11, s7, 1
	v_sub_co_u32 v1, s2, s2, s12
	s_mul_hi_u32 s12, s25, s7
	s_addc_u32 s13, s10, 0
	s_mul_i32 s14, s25, s10
	s_delay_alu instid0(VALU_DEP_1)
	v_sub_co_u32 v4, s18, v1, s25
	s_add_u32 s19, s7, 2
	s_addc_u32 s20, s10, 0
	s_add_i32 s12, s12, s14
	s_cmp_lg_u32 s2, 0
	v_readfirstlane_b32 s2, v4
	s_subb_u32 s3, s3, s12
	s_cmp_lg_u32 s18, 0
	s_subb_u32 s12, s3, 0
	s_delay_alu instid0(VALU_DEP_1) | instskip(SKIP_4) | instid1(SALU_CYCLE_1)
	s_cmp_ge_u32 s2, s25
	s_cselect_b32 s2, -1, 0
	s_cmp_eq_u32 s12, 0
	v_readfirstlane_b32 s12, v1
	s_cselect_b32 s2, s2, -1
	s_cmp_lg_u32 s2, 0
	s_cselect_b32 s2, s19, s11
	s_cselect_b32 s11, s20, s13
	s_cmp_ge_u32 s12, s25
	s_cselect_b32 s12, -1, 0
	s_cmp_eq_u32 s3, 0
	s_cselect_b32 s3, s12, -1
	s_delay_alu instid0(SALU_CYCLE_1) | instskip(SKIP_2) | instid1(SALU_CYCLE_1)
	s_cmp_lg_u32 s3, 0
	s_cselect_b32 s3, s11, s10
	s_cselect_b32 s2, s2, s7
	s_xor_b64 s[2:3], s[2:3], s[8:9]
	s_delay_alu instid0(SALU_CYCLE_1)
	s_sub_u32 s2, s2, s8
	s_subb_u32 s3, s3, s8
	s_cbranch_execnz .LBB33_5
.LBB33_4:
	v_cvt_f32_u32_e32 v1, s25
	s_sub_i32 s3, 0, s25
	s_delay_alu instid0(VALU_DEP_1) | instskip(SKIP_2) | instid1(VALU_DEP_1)
	v_rcp_iflag_f32_e32 v1, v1
	s_waitcnt_depctr 0xfff
	v_mul_f32_e32 v1, 0x4f7ffffe, v1
	v_cvt_u32_f32_e32 v1, v1
	s_delay_alu instid0(VALU_DEP_1) | instskip(NEXT) | instid1(VALU_DEP_1)
	v_readfirstlane_b32 s2, v1
	s_mul_i32 s3, s3, s2
	s_delay_alu instid0(SALU_CYCLE_1) | instskip(NEXT) | instid1(SALU_CYCLE_1)
	s_mul_hi_u32 s3, s2, s3
	s_add_i32 s2, s2, s3
	s_delay_alu instid0(SALU_CYCLE_1) | instskip(NEXT) | instid1(SALU_CYCLE_1)
	s_mul_hi_u32 s2, s6, s2
	s_mul_i32 s3, s2, s25
	s_delay_alu instid0(SALU_CYCLE_1)
	s_sub_i32 s3, s6, s3
	s_add_i32 s6, s2, 1
	s_sub_i32 s7, s3, s25
	s_cmp_ge_u32 s3, s25
	s_cselect_b32 s2, s6, s2
	s_cselect_b32 s3, s7, s3
	s_add_i32 s6, s2, 1
	s_cmp_ge_u32 s3, s25
	s_mov_b32 s3, 0
	s_cselect_b32 s2, s6, s2
.LBB33_5:
	v_mov_b32_e32 v1, 0
	s_add_u32 s2, s2, 1
	s_addc_u32 s3, s3, 0
	s_mul_hi_u32 s6, s24, s2
	s_mul_i32 s3, s24, s3
	v_mad_u64_u32 v[10:11], null, s5, s15, v[0:1]
	s_mul_hi_u32 s4, s4, s5
	s_add_i32 s3, s6, s3
	s_mul_i32 s4, s4, s2
	s_mul_i32 s2, s24, s2
	s_add_i32 s3, s3, s4
	s_mov_b32 s4, exec_lo
	s_lshl_b64 s[2:3], s[2:3], 2
	s_delay_alu instid0(SALU_CYCLE_1)
	v_cmpx_gt_i64_e64 s[2:3], v[10:11]
	s_cbranch_execz .LBB33_78
; %bb.6:
	s_load_b128 s[12:15], s[0:1], 0x138
	s_mov_b32 s4, 0x3e9b6dac
	v_log_f32_e32 v32, s0
	v_alignbit_b32 v22, v3, v2, 2
	v_lshrrev_b32_e32 v23, 2, v3
	s_waitcnt vmcnt(0)
	v_add_co_u32 v21, null, 0x9e3779b9, v8
	v_add_co_u32 v24, null, 0x3c6ef372, v8
	;; [unrolled: 1-line block ×6, first 2 shown]
	s_add_u32 s18, s0, 48
	s_addc_u32 s19, s1, 0
	s_mov_b32 s26, 0
	s_waitcnt lgkmcnt(0)
	v_cvt_f32_f64_e32 v12, s[14:15]
	s_load_b64 s[14:15], s[0:1], 0xf4
	s_mul_i32 s33, s24, 3
	s_delay_alu instid0(VALU_DEP_1) | instskip(NEXT) | instid1(VALU_DEP_1)
	v_sub_f32_e32 v4, 1.0, v12
	v_cvt_f64_f32_e32 v[0:1], v4
	s_delay_alu instid0(VALU_DEP_1) | instskip(SKIP_1) | instid1(VALU_DEP_1)
	v_frexp_exp_i32_f64_e32 v0, v[0:1]
	v_frexp_mant_f32_e32 v1, v4
	v_cmp_gt_f32_e32 vcc_lo, 0x3f2aaaab, v1
	v_add_f32_e32 v1, -1.0, v4
	s_delay_alu instid0(VALU_DEP_1) | instskip(NEXT) | instid1(VALU_DEP_1)
	v_sub_f32_e32 v6, v1, v4
	v_add_f32_e32 v6, 1.0, v6
	v_sub_f32_e64 v1, -v12, v1
	s_delay_alu instid0(VALU_DEP_1) | instskip(SKIP_2) | instid1(VALU_DEP_2)
	v_add_f32_e32 v1, v1, v6
	v_subrev_co_ci_u32_e32 v0, vcc_lo, 0, v0, vcc_lo
	v_cmp_eq_f32_e32 vcc_lo, 0xff800000, v12
	v_sub_nc_u32_e32 v5, 0, v0
	v_cvt_f32_i32_e32 v0, v0
	s_delay_alu instid0(VALU_DEP_2) | instskip(SKIP_1) | instid1(VALU_DEP_2)
	v_ldexp_f32 v4, v4, v5
	v_ldexp_f32 v1, v1, v5
	v_add_f32_e32 v7, 1.0, v4
	s_delay_alu instid0(VALU_DEP_1) | instskip(NEXT) | instid1(VALU_DEP_1)
	v_dual_add_f32 v5, -1.0, v4 :: v_dual_add_f32 v6, -1.0, v7
	v_dual_add_f32 v13, 1.0, v5 :: v_dual_sub_f32 v6, v4, v6
	s_delay_alu instid0(VALU_DEP_1) | instskip(NEXT) | instid1(VALU_DEP_1)
	v_add_f32_e32 v6, v1, v6
	v_dual_sub_f32 v4, v4, v13 :: v_dual_add_f32 v13, v7, v6
	s_delay_alu instid0(VALU_DEP_1) | instskip(NEXT) | instid1(VALU_DEP_2)
	v_sub_f32_e32 v7, v13, v7
	v_add_f32_e32 v1, v1, v4
	v_rcp_f32_e32 v4, v13
	s_delay_alu instid0(VALU_DEP_1) | instskip(SKIP_3) | instid1(VALU_DEP_2)
	v_add_f32_e32 v14, v5, v1
	s_waitcnt_depctr 0xfff
	v_mul_f32_e32 v15, v14, v4
	v_sub_f32_e32 v6, v6, v7
	v_mul_f32_e32 v16, v13, v15
	s_delay_alu instid0(VALU_DEP_1) | instskip(NEXT) | instid1(VALU_DEP_1)
	v_fma_f32 v7, v15, v13, -v16
	v_fmac_f32_e32 v7, v15, v6
	v_sub_f32_e32 v5, v14, v5
	s_delay_alu instid0(VALU_DEP_2) | instskip(NEXT) | instid1(VALU_DEP_2)
	v_add_f32_e32 v17, v16, v7
	v_sub_f32_e32 v1, v1, v5
	s_delay_alu instid0(VALU_DEP_2) | instskip(NEXT) | instid1(VALU_DEP_1)
	v_sub_f32_e32 v18, v14, v17
	v_dual_sub_f32 v14, v14, v18 :: v_dual_sub_f32 v5, v17, v16
	s_delay_alu instid0(VALU_DEP_1) | instskip(NEXT) | instid1(VALU_DEP_1)
	v_dual_sub_f32 v14, v14, v17 :: v_dual_sub_f32 v5, v5, v7
	v_add_f32_e32 v1, v1, v14
	s_delay_alu instid0(VALU_DEP_1) | instskip(NEXT) | instid1(VALU_DEP_1)
	v_add_f32_e32 v1, v5, v1
	v_add_f32_e32 v5, v18, v1
	s_delay_alu instid0(VALU_DEP_1) | instskip(NEXT) | instid1(VALU_DEP_1)
	v_mul_f32_e32 v7, v4, v5
	v_dual_mul_f32 v14, v13, v7 :: v_dual_sub_f32 v17, v18, v5
	v_add_co_u32 v18, null, 0x5384540f, v8
	s_delay_alu instid0(VALU_DEP_2) | instskip(NEXT) | instid1(VALU_DEP_3)
	v_fma_f32 v13, v7, v13, -v14
	v_add_f32_e32 v1, v1, v17
	s_delay_alu instid0(VALU_DEP_2) | instskip(NEXT) | instid1(VALU_DEP_1)
	v_fmac_f32_e32 v13, v7, v6
	v_add_f32_e32 v6, v14, v13
	s_delay_alu instid0(VALU_DEP_1) | instskip(NEXT) | instid1(VALU_DEP_1)
	v_sub_f32_e32 v16, v5, v6
	v_dual_sub_f32 v14, v6, v14 :: v_dual_sub_f32 v5, v5, v16
	s_delay_alu instid0(VALU_DEP_1) | instskip(SKIP_1) | instid1(VALU_DEP_2)
	v_dual_sub_f32 v5, v5, v6 :: v_dual_sub_f32 v6, v14, v13
	v_mov_b32_e32 v14, v9
	v_add_f32_e32 v1, v1, v5
	v_add_f32_e32 v5, v15, v7
	s_delay_alu instid0(VALU_DEP_3) | instskip(SKIP_1) | instid1(VALU_DEP_3)
	v_add_co_u32 v35, null, 0xa9066899, v14
	v_add_co_u32 v34, null, 0x646e171e, v14
	v_dual_add_f32 v1, v6, v1 :: v_dual_sub_f32 v6, v5, v15
	v_add_co_u32 v36, null, 0x1fd5c5a3, v14
	s_delay_alu instid0(VALU_DEP_2) | instskip(NEXT) | instid1(VALU_DEP_1)
	v_dual_add_f32 v1, v16, v1 :: v_dual_sub_f32 v6, v7, v6
	v_dual_mul_f32 v1, v4, v1 :: v_dual_add_nc_u32 v16, 0x8ff34781, v8
	s_delay_alu instid0(VALU_DEP_1) | instskip(NEXT) | instid1(VALU_DEP_1)
	v_add_f32_e32 v1, v6, v1
	v_add_f32_e32 v4, v5, v1
	s_delay_alu instid0(VALU_DEP_1) | instskip(NEXT) | instid1(VALU_DEP_1)
	v_mul_f32_e32 v6, v4, v4
	v_fmaak_f32 v7, s4, v6, 0x3ecc95a3
	v_mul_f32_e32 v13, v4, v6
	s_load_b256 s[4:11], s[0:1], 0x30
	s_waitcnt lgkmcnt(0)
	v_cmp_gt_f32_e64 s11, 0x33800000, |v12|
	v_fmaak_f32 v6, v6, v7, 0x3f2aaada
	v_ldexp_f32 v7, v4, 1
	s_delay_alu instid0(VALU_DEP_2) | instskip(NEXT) | instid1(VALU_DEP_1)
	v_mul_f32_e32 v6, v13, v6
	v_dual_sub_f32 v4, v4, v5 :: v_dual_add_f32 v5, v7, v6
	s_delay_alu instid0(VALU_DEP_1) | instskip(NEXT) | instid1(VALU_DEP_2)
	v_sub_f32_e32 v1, v1, v4
	v_sub_f32_e32 v4, v5, v7
	s_delay_alu instid0(VALU_DEP_2) | instskip(SKIP_1) | instid1(SALU_CYCLE_1)
	v_ldexp_f32 v1, v1, 1
	s_add_i32 s20, s4, -1
	s_cmp_gt_u32 s20, 1
	s_delay_alu instid0(VALU_DEP_2) | instskip(NEXT) | instid1(VALU_DEP_1)
	v_sub_f32_e32 v4, v6, v4
	v_add_f32_e32 v4, v1, v4
	s_delay_alu instid0(VALU_DEP_1) | instskip(SKIP_1) | instid1(VALU_DEP_2)
	v_add_f32_e32 v27, v5, v4
	v_mul_f32_e32 v13, 0x3f317218, v0
	v_sub_f32_e32 v5, v27, v5
	s_delay_alu instid0(VALU_DEP_2) | instskip(NEXT) | instid1(VALU_DEP_2)
	v_fma_f32 v7, 0x3f317218, v0, -v13
	v_sub_f32_e32 v31, v4, v5
	s_delay_alu instid0(VALU_DEP_2) | instskip(SKIP_1) | instid1(VALU_DEP_2)
	v_fmamk_f32 v6, v0, 0xb102e308, v7
	v_mad_u64_u32 v[0:1], null, 0xcd9e8d57, v10, 0
	v_add_f32_e32 v7, v13, v6
	s_delay_alu instid0(VALU_DEP_2) | instskip(NEXT) | instid1(VALU_DEP_2)
	v_xor3_b32 v1, v8, v1, v23
	v_add_f32_e32 v28, v7, v27
	s_delay_alu instid0(VALU_DEP_1) | instskip(SKIP_2) | instid1(VALU_DEP_3)
	v_sub_f32_e32 v29, v28, v7
	v_and_b32_e32 v15, 3, v2
	v_mad_u64_u32 v[2:3], null, 0xd2511f53, v22, 0
	v_sub_f32_e32 v30, v28, v29
	v_sub_f32_e32 v4, v27, v29
	;; [unrolled: 1-line block ×3, first 2 shown]
	v_add_co_u32 v27, null, 0xf1bbcdc8, v8
	s_delay_alu instid0(VALU_DEP_4) | instskip(SKIP_1) | instid1(VALU_DEP_4)
	v_sub_f32_e32 v5, v7, v30
	v_xor_b32_e32 v3, v3, v9
	v_sub_f32_e32 v13, v6, v13
	s_delay_alu instid0(VALU_DEP_3) | instskip(NEXT) | instid1(VALU_DEP_3)
	v_add_f32_e32 v4, v4, v5
	v_xor_b32_e32 v30, v3, v11
	s_delay_alu instid0(VALU_DEP_3) | instskip(NEXT) | instid1(VALU_DEP_1)
	v_add_f32_e32 v6, v13, v31
	v_sub_f32_e32 v7, v6, v13
	s_delay_alu instid0(VALU_DEP_4) | instskip(SKIP_1) | instid1(VALU_DEP_3)
	v_add_f32_e32 v29, v6, v4
	v_mad_u64_u32 v[3:4], null, 0xd2511f53, v1, 0
	v_sub_f32_e32 v1, v6, v7
	s_delay_alu instid0(VALU_DEP_3) | instskip(SKIP_2) | instid1(VALU_DEP_4)
	v_add_f32_e32 v33, v28, v29
	v_sub_f32_e32 v7, v31, v7
	v_mad_u64_u32 v[5:6], null, 0xcd9e8d57, v30, 0
	v_sub_f32_e32 v1, v13, v1
	s_delay_alu instid0(VALU_DEP_4) | instskip(SKIP_2) | instid1(VALU_DEP_4)
	v_sub_f32_e32 v13, v33, v28
	v_add_co_u32 v28, null, 0xbb67ae85, v14
	v_mul_f32_e32 v31, 0x3f317217, v32
	v_add_f32_e32 v1, v7, v1
	s_delay_alu instid0(VALU_DEP_4)
	v_sub_f32_e32 v7, v29, v13
	v_add_nc_u32_e32 v17, 0x96a522ad, v9
	v_xor3_b32 v2, v28, v4, v2
	v_xor3_b32 v13, v21, v6, v0
	v_fma_f32 v4, 0x3f317217, v32, -v31
	v_dual_add_f32 v30, v1, v7 :: v_dual_mov_b32 v29, v10
	s_delay_alu instid0(VALU_DEP_4) | instskip(NEXT) | instid1(VALU_DEP_4)
	v_mad_u64_u32 v[0:1], null, 0xcd9e8d57, v2, 0
	v_mad_u64_u32 v[6:7], null, 0xd2511f53, v13, 0
	s_delay_alu instid0(VALU_DEP_3) | instskip(SKIP_3) | instid1(VALU_DEP_4)
	v_add_f32_e32 v2, v33, v30
	v_fmac_f32_e32 v4, 0x3377d1cf, v32
	v_add_co_u32 v30, null, 0x76cf5d0a, v14
	v_add_co_u32 v33, null, 0xed9eba14, v14
	v_cndmask_b32_e64 v2, v2, -v12, vcc_lo
	v_cmp_nlt_f32_e32 vcc_lo, 1.0, v12
	v_add_f32_e32 v13, v31, v4
	v_xor3_b32 v4, v24, v1, v5
	v_xor3_b32 v5, v30, v7, v3
	v_add_co_u32 v31, null, 0x32370b8f, v14
	v_cndmask_b32_e32 v7, 0x7fc00000, v2, vcc_lo
	v_cmp_neq_f32_e32 vcc_lo, 1.0, v12
	v_mad_u64_u32 v[1:2], null, 0xd2511f53, v4, 0
	v_mad_u64_u32 v[3:4], null, 0xcd9e8d57, v5, 0
	s_delay_alu instid0(VALU_DEP_4) | instskip(SKIP_1) | instid1(VALU_DEP_4)
	v_cndmask_b32_e32 v5, 0xff800000, v7, vcc_lo
	v_cmp_gt_f32_e64 vcc_lo, 0x7f800000, |v32|
	v_xor3_b32 v2, v31, v2, v6
	v_cndmask_b32_e32 v13, v32, v13, vcc_lo
	s_delay_alu instid0(VALU_DEP_4) | instskip(SKIP_1) | instid1(VALU_DEP_4)
	v_cndmask_b32_e64 v32, v5, -v12, s11
	v_xor3_b32 v0, v20, v4, v0
	v_mad_u64_u32 v[4:5], null, 0xcd9e8d57, v2, 0
	s_cselect_b32 s11, -1, 0
	s_delay_alu instid0(VALU_DEP_3) | instskip(NEXT) | instid1(VALU_DEP_3)
	v_div_scale_f32 v12, null, v32, v32, v13
	v_mad_u64_u32 v[6:7], null, 0xd2511f53, v0, 0
	v_div_scale_f32 v38, vcc_lo, v13, v32, v13
	s_delay_alu instid0(VALU_DEP_3) | instskip(NEXT) | instid1(VALU_DEP_4)
	v_rcp_f32_e32 v37, v12
	v_xor3_b32 v2, v25, v5, v3
	s_cmp_lg_u32 s4, 0
	s_delay_alu instid0(VALU_DEP_3) | instskip(SKIP_1) | instid1(VALU_DEP_2)
	v_xor3_b32 v5, v33, v7, v1
	s_cselect_b32 s27, -1, 0
	v_mad_u64_u32 v[0:1], null, 0xd2511f53, v2, 0
	s_add_u32 s0, s0, 0xf4
	s_delay_alu instid0(VALU_DEP_2)
	v_mad_u64_u32 v[2:3], null, 0xcd9e8d57, v5, 0
	s_waitcnt_depctr 0xfff
	v_fma_f32 v7, -v12, v37, 1.0
	s_addc_u32 s1, s1, 0
	s_min_u32 s21, s20, 15
	v_xor3_b32 v1, v35, v1, v6
	s_cmp_gt_u32 s4, 1
	v_fmac_f32_e32 v37, v7, v37
	v_xor3_b32 v7, v19, v3, v4
	s_cselect_b32 s4, -1, 0
	v_mad_u64_u32 v[3:4], null, 0xcd9e8d57, v1, 0
	s_delay_alu instid0(VALU_DEP_3) | instskip(NEXT) | instid1(VALU_DEP_3)
	v_mul_f32_e32 v39, v38, v37
	v_mad_u64_u32 v[5:6], null, 0xd2511f53, v7, 0
	s_add_i32 s21, s21, 1
	s_lshl_b32 s28, s24, 1
	s_delay_alu instid0(VALU_DEP_2) | instskip(NEXT) | instid1(VALU_DEP_4)
	v_fma_f32 v1, -v12, v39, v38
	v_xor3_b32 v2, v26, v4, v2
	s_and_b32 s29, s21, 3
	s_cmp_lg_u32 s20, 2
	s_delay_alu instid0(VALU_DEP_3) | instskip(SKIP_3) | instid1(VALU_DEP_3)
	v_xor3_b32 v4, v34, v6, v0
	v_fmac_f32_e32 v39, v1, v37
	v_mad_u64_u32 v[0:1], null, 0xd2511f53, v2, 0
	s_cselect_b32 s30, -1, 0
	v_mad_u64_u32 v[6:7], null, 0xcd9e8d57, v4, 0
	s_delay_alu instid0(VALU_DEP_3) | instskip(SKIP_2) | instid1(VALU_DEP_3)
	v_fma_f32 v2, -v12, v39, v38
	s_and_b32 s31, s21, 28
	s_cmp_lg_u32 s29, 0
	v_xor3_b32 v4, v36, v1, v5
	s_cselect_b32 s34, -1, 0
	v_div_fmas_f32 v2, v2, v37, v39
	s_delay_alu instid0(VALU_DEP_4) | instskip(SKIP_2) | instid1(VALU_DEP_4)
	v_xor3_b32 v3, v18, v7, v3
	v_add_co_u32 v37, null, 0xdb3d7428, v14
	v_mov_b32_e32 v39, v11
	v_div_fixup_f32 v5, v2, v32, v13
	s_delay_alu instid0(VALU_DEP_4) | instskip(SKIP_1) | instid1(VALU_DEP_3)
	v_mad_u64_u32 v[12:13], null, 0xd2511f53, v3, 0
	v_mad_u64_u32 v[1:2], null, 0xcd9e8d57, v4, 0
	v_ceil_f32_e32 v38, v5
	s_delay_alu instid0(VALU_DEP_3) | instskip(NEXT) | instid1(VALU_DEP_2)
	v_xor3_b32 v0, v37, v13, v0
	v_bfe_u32 v3, v38, 16, 1
	s_delay_alu instid0(VALU_DEP_4) | instskip(SKIP_1) | instid1(VALU_DEP_4)
	v_xor3_b32 v2, v27, v2, v6
	v_cmp_o_f32_e32 vcc_lo, v38, v38
	v_mad_u64_u32 v[4:5], null, 0xcd9e8d57, v0, 0
	s_delay_alu instid0(VALU_DEP_4) | instskip(NEXT) | instid1(VALU_DEP_4)
	v_add_nc_u32_e32 v3, v38, v3
	v_mad_u64_u32 v[6:7], null, 0xd2511f53, v2, 0
	s_delay_alu instid0(VALU_DEP_2) | instskip(NEXT) | instid1(VALU_DEP_4)
	v_add_nc_u32_e32 v0, 0x7fff, v3
	v_xor3_b32 v3, v5, v1, v16
	s_delay_alu instid0(VALU_DEP_3) | instskip(NEXT) | instid1(VALU_DEP_3)
	v_xor3_b32 v5, v7, v12, v17
	v_lshrrev_b32_e32 v0, 16, v0
	s_delay_alu instid0(VALU_DEP_1)
	v_cndmask_b32_e32 v38, 0x7fc0, v0, vcc_lo
	s_branch .LBB33_9
.LBB33_7:                               ;   in Loop: Header=BB33_9 Depth=1
	global_store_b16 v4, v38, s[12:13]
.LBB33_8:                               ;   in Loop: Header=BB33_9 Depth=1
	s_or_b32 exec_lo, exec_lo, s35
	v_add_co_u32 v10, vcc_lo, v10, s25
	v_add_co_ci_u32_e32 v11, vcc_lo, 0, v11, vcc_lo
	v_mov_b32_e32 v3, v12
	s_waitcnt_vscnt null, 0x0
	s_barrier
	s_delay_alu instid0(VALU_DEP_2)
	v_cmp_le_i64_e32 vcc_lo, s[2:3], v[10:11]
	buffer_gl0_inv
	v_mov_b32_e32 v6, v3
	v_dual_mov_b32 v5, v2 :: v_dual_mov_b32 v4, v1
	v_mov_b32_e32 v3, v0
	s_or_b32 s26, vcc_lo, s26
	s_delay_alu instid0(SALU_CYCLE_1)
	s_and_not1_b32 exec_lo, exec_lo, s26
	s_cbranch_execz .LBB33_78
.LBB33_9:                               ; =>This Loop Header: Depth=1
                                        ;     Child Loop BB33_24 Depth 2
                                        ;     Child Loop BB33_29 Depth 2
                                        ;     Child Loop BB33_39 Depth 2
                                        ;     Child Loop BB33_44 Depth 2
                                        ;     Child Loop BB33_54 Depth 2
                                        ;     Child Loop BB33_59 Depth 2
                                        ;     Child Loop BB33_69 Depth 2
                                        ;     Child Loop BB33_74 Depth 2
	v_add_co_u32 v22, vcc_lo, v22, 1
	s_delay_alu instid0(VALU_DEP_1) | instskip(SKIP_2) | instid1(VALU_DEP_1)
	v_cndmask_b32_e64 v0, 0, 1, vcc_lo
	v_add_co_ci_u32_e32 v23, vcc_lo, 0, v23, vcc_lo
	s_mov_b32 s20, exec_lo
	v_cmp_eq_u32_e32 vcc_lo, 0, v23
	s_delay_alu instid0(VALU_DEP_3) | instskip(NEXT) | instid1(VALU_DEP_1)
	v_cndmask_b32_e32 v0, 0, v0, vcc_lo
	v_add_nc_u32_e32 v29, v0, v29
	s_delay_alu instid0(VALU_DEP_1) | instskip(SKIP_2) | instid1(VALU_DEP_2)
	v_cmp_eq_u32_e32 vcc_lo, 0, v29
	v_cndmask_b32_e32 v0, 0, v0, vcc_lo
	v_mad_u64_u32 v[12:13], null, 0xcd9e8d57, v29, 0
	v_add_nc_u32_e32 v39, v0, v39
	v_mad_u64_u32 v[0:1], null, 0xd2511f53, v22, 0
	s_delay_alu instid0(VALU_DEP_3) | instskip(NEXT) | instid1(VALU_DEP_2)
	v_xor3_b32 v7, v13, v8, v23
	v_xor_b32_e32 v1, v1, v9
	s_delay_alu instid0(VALU_DEP_1) | instskip(NEXT) | instid1(VALU_DEP_3)
	v_xor_b32_e32 v40, v39, v1
	v_mad_u64_u32 v[1:2], null, 0xd2511f53, v7, 0
	s_delay_alu instid0(VALU_DEP_2) | instskip(NEXT) | instid1(VALU_DEP_2)
	v_mad_u64_u32 v[13:14], null, 0xcd9e8d57, v40, 0
	v_xor3_b32 v0, v28, v2, v0
	s_delay_alu instid0(VALU_DEP_2) | instskip(NEXT) | instid1(VALU_DEP_2)
	v_xor3_b32 v2, v21, v14, v12
	v_mad_u64_u32 v[40:41], null, 0xcd9e8d57, v0, 0
	s_delay_alu instid0(VALU_DEP_2) | instskip(NEXT) | instid1(VALU_DEP_2)
	v_mad_u64_u32 v[42:43], null, 0xd2511f53, v2, 0
	v_xor3_b32 v2, v24, v41, v13
	s_delay_alu instid0(VALU_DEP_2) | instskip(NEXT) | instid1(VALU_DEP_2)
	v_xor3_b32 v7, v30, v43, v1
	;; [unrolled: 6-line block ×9, first 2 shown]
	v_mov_b32_e32 v2, v7
	v_cmpx_lt_i32_e32 1, v15
	s_xor_b32 s20, exec_lo, s20
	s_cbranch_execnz .LBB33_12
; %bb.10:                               ;   in Loop: Header=BB33_9 Depth=1
	s_and_not1_saveexec_b32 s20, s20
	s_cbranch_execnz .LBB33_17
.LBB33_11:                              ;   in Loop: Header=BB33_9 Depth=1
	s_or_b32 exec_lo, exec_lo, s20
	s_delay_alu instid0(SALU_CYCLE_1)
	s_mov_b32 s35, exec_lo
	v_cmpx_gt_i64_e64 s[16:17], v[10:11]
	s_cbranch_execnz .LBB33_20
	s_branch .LBB33_34
.LBB33_12:                              ;   in Loop: Header=BB33_9 Depth=1
	s_mov_b32 s21, exec_lo
	v_cmpx_lt_i32_e32 2, v15
	s_xor_b32 s21, exec_lo, s21
; %bb.13:                               ;   in Loop: Header=BB33_9 Depth=1
	v_dual_mov_b32 v4, v6 :: v_dual_mov_b32 v5, v0
	v_mov_b32_e32 v6, v1
	s_delay_alu instid0(VALU_DEP_2) | instskip(NEXT) | instid1(VALU_DEP_3)
	v_mov_b32_e32 v3, v4
	v_mov_b32_e32 v4, v5
	s_delay_alu instid0(VALU_DEP_3)
	v_mov_b32_e32 v5, v6
	v_mov_b32_e32 v6, v7
; %bb.14:                               ;   in Loop: Header=BB33_9 Depth=1
	s_and_not1_saveexec_b32 s21, s21
; %bb.15:                               ;   in Loop: Header=BB33_9 Depth=1
	s_delay_alu instid0(VALU_DEP_1)
	v_dual_mov_b32 v3, v5 :: v_dual_mov_b32 v4, v6
	v_dual_mov_b32 v5, v0 :: v_dual_mov_b32 v6, v1
; %bb.16:                               ;   in Loop: Header=BB33_9 Depth=1
	s_or_b32 exec_lo, exec_lo, s21
	s_and_not1_saveexec_b32 s20, s20
	s_cbranch_execz .LBB33_11
.LBB33_17:                              ;   in Loop: Header=BB33_9 Depth=1
	s_mov_b32 s21, exec_lo
	v_cmpx_eq_u32_e32 1, v15
; %bb.18:                               ;   in Loop: Header=BB33_9 Depth=1
	v_dual_mov_b32 v3, v4 :: v_dual_mov_b32 v4, v5
	v_dual_mov_b32 v5, v6 :: v_dual_mov_b32 v6, v0
; %bb.19:                               ;   in Loop: Header=BB33_9 Depth=1
	s_or_b32 exec_lo, exec_lo, s21
	s_delay_alu instid0(SALU_CYCLE_1) | instskip(NEXT) | instid1(SALU_CYCLE_1)
	s_or_b32 exec_lo, exec_lo, s20
	s_mov_b32 s35, exec_lo
	v_cmpx_gt_i64_e64 s[16:17], v[10:11]
	s_cbranch_execz .LBB33_34
.LBB33_20:                              ;   in Loop: Header=BB33_9 Depth=1
	s_and_not1_b32 vcc_lo, exec_lo, s11
	s_cbranch_vccnz .LBB33_26
; %bb.21:                               ;   in Loop: Header=BB33_9 Depth=1
	v_mov_b32_e32 v7, 0
	s_and_not1_b32 vcc_lo, exec_lo, s27
	s_cbranch_vccnz .LBB33_30
; %bb.22:                               ;   in Loop: Header=BB33_9 Depth=1
	s_and_not1_b32 vcc_lo, exec_lo, s30
	s_mov_b32 s20, 0
	s_cbranch_vccnz .LBB33_27
; %bb.23:                               ;   in Loop: Header=BB33_9 Depth=1
	v_mov_b32_e32 v7, 0
	v_mov_b32_e32 v13, v10
	s_mov_b32 s36, 0
	s_mov_b64 s[20:21], s[18:19]
	s_mov_b64 s[22:23], s[0:1]
.LBB33_24:                              ;   Parent Loop BB33_9 Depth=1
                                        ; =>  This Inner Loop Header: Depth=2
	s_clause 0x1
	s_load_b256 s[40:47], s[20:21], 0x4
	s_load_b128 s[48:51], s[20:21], 0x24
	s_load_b128 s[52:55], s[22:23], 0x0
	s_add_u32 s20, s20, 48
	s_addc_u32 s21, s21, 0
	s_add_i32 s36, s36, 4
	s_add_u32 s22, s22, 16
	s_addc_u32 s23, s23, 0
	s_cmp_lg_u32 s31, s36
	s_waitcnt lgkmcnt(0)
	v_mul_hi_u32 v14, s41, v13
	s_delay_alu instid0(VALU_DEP_1) | instskip(NEXT) | instid1(VALU_DEP_1)
	v_add_nc_u32_e32 v14, v13, v14
	v_lshrrev_b32_e32 v14, s42, v14
	s_delay_alu instid0(VALU_DEP_1) | instskip(SKIP_1) | instid1(VALU_DEP_2)
	v_mul_hi_u32 v40, s44, v14
	v_mul_lo_u32 v43, v14, s40
	v_add_nc_u32_e32 v40, v14, v40
	s_delay_alu instid0(VALU_DEP_2) | instskip(NEXT) | instid1(VALU_DEP_2)
	v_sub_nc_u32_e32 v43, v13, v43
	v_lshrrev_b32_e32 v40, s45, v40
	s_delay_alu instid0(VALU_DEP_2) | instskip(NEXT) | instid1(VALU_DEP_2)
	v_mul_lo_u32 v43, v43, s52
	v_mul_hi_u32 v41, s47, v40
	v_mul_lo_u32 v44, v40, s43
	s_delay_alu instid0(VALU_DEP_2) | instskip(NEXT) | instid1(VALU_DEP_2)
	v_add_nc_u32_e32 v41, v40, v41
	v_sub_nc_u32_e32 v14, v14, v44
	s_delay_alu instid0(VALU_DEP_2) | instskip(NEXT) | instid1(VALU_DEP_2)
	v_lshrrev_b32_e32 v41, s48, v41
	v_mul_lo_u32 v14, v14, s53
	s_delay_alu instid0(VALU_DEP_2) | instskip(NEXT) | instid1(VALU_DEP_2)
	v_mul_hi_u32 v42, s50, v41
	v_add3_u32 v7, v43, v7, v14
	s_delay_alu instid0(VALU_DEP_2) | instskip(NEXT) | instid1(VALU_DEP_1)
	v_add_nc_u32_e32 v42, v41, v42
	v_lshrrev_b32_e32 v13, s51, v42
	v_mul_lo_u32 v42, v41, s46
	s_delay_alu instid0(VALU_DEP_2) | instskip(NEXT) | instid1(VALU_DEP_2)
	v_mul_lo_u32 v45, v13, s49
	v_sub_nc_u32_e32 v40, v40, v42
	s_delay_alu instid0(VALU_DEP_2) | instskip(NEXT) | instid1(VALU_DEP_2)
	v_sub_nc_u32_e32 v41, v41, v45
	v_mul_lo_u32 v40, v40, s54
	s_delay_alu instid0(VALU_DEP_2) | instskip(NEXT) | instid1(VALU_DEP_1)
	v_mul_lo_u32 v41, v41, s55
	v_add3_u32 v7, v40, v7, v41
	s_cbranch_scc1 .LBB33_24
; %bb.25:                               ;   in Loop: Header=BB33_9 Depth=1
	s_mov_b32 s20, s31
	s_and_not1_b32 vcc_lo, exec_lo, s34
	s_cbranch_vccz .LBB33_28
	s_branch .LBB33_30
.LBB33_26:                              ;   in Loop: Header=BB33_9 Depth=1
                                        ; implicit-def: $vgpr7
	s_branch .LBB33_31
.LBB33_27:                              ;   in Loop: Header=BB33_9 Depth=1
	v_mov_b32_e32 v13, v10
	s_and_not1_b32 vcc_lo, exec_lo, s34
	s_cbranch_vccnz .LBB33_30
.LBB33_28:                              ;   in Loop: Header=BB33_9 Depth=1
	s_lshl_b32 s21, s20, 2
	s_mul_i32 s22, s20, 12
	s_add_u32 s20, s0, s21
	s_addc_u32 s21, s1, 0
	s_add_u32 s22, s18, s22
	s_addc_u32 s23, s19, 0
	s_mov_b32 s36, s29
	.p2align	6
.LBB33_29:                              ;   Parent Loop BB33_9 Depth=1
                                        ; =>  This Inner Loop Header: Depth=2
	s_clause 0x1
	s_load_b64 s[38:39], s[22:23], 0x4
	s_load_b32 s37, s[22:23], 0xc
	s_add_u32 s22, s22, 12
	s_addc_u32 s23, s23, 0
	s_waitcnt lgkmcnt(0)
	v_mul_hi_u32 v14, s39, v13
	s_load_b32 s39, s[20:21], 0x0
	s_add_u32 s20, s20, 4
	s_addc_u32 s21, s21, 0
	s_add_i32 s36, s36, -1
	s_delay_alu instid0(SALU_CYCLE_1) | instskip(NEXT) | instid1(VALU_DEP_1)
	s_cmp_lg_u32 s36, 0
	v_add_nc_u32_e32 v14, v13, v14
	s_delay_alu instid0(VALU_DEP_1) | instskip(NEXT) | instid1(VALU_DEP_1)
	v_lshrrev_b32_e32 v14, s37, v14
	v_mul_lo_u32 v40, v14, s38
	s_delay_alu instid0(VALU_DEP_1) | instskip(SKIP_1) | instid1(VALU_DEP_1)
	v_sub_nc_u32_e32 v13, v13, v40
	s_waitcnt lgkmcnt(0)
	v_mad_u64_u32 v[40:41], null, v13, s39, v[7:8]
	v_mov_b32_e32 v13, v14
	s_delay_alu instid0(VALU_DEP_2)
	v_mov_b32_e32 v7, v40
	s_cbranch_scc1 .LBB33_29
.LBB33_30:                              ;   in Loop: Header=BB33_9 Depth=1
	s_cbranch_execnz .LBB33_33
.LBB33_31:                              ;   in Loop: Header=BB33_9 Depth=1
	v_mul_hi_u32 v7, v10, s6
	s_and_not1_b32 vcc_lo, exec_lo, s4
	s_delay_alu instid0(VALU_DEP_1) | instskip(NEXT) | instid1(VALU_DEP_1)
	v_add_nc_u32_e32 v7, v7, v10
	v_lshrrev_b32_e32 v13, s7, v7
	s_delay_alu instid0(VALU_DEP_1) | instskip(NEXT) | instid1(VALU_DEP_1)
	v_mul_lo_u32 v7, v13, s5
	v_sub_nc_u32_e32 v7, v10, v7
	s_delay_alu instid0(VALU_DEP_1)
	v_mul_lo_u32 v7, v7, s14
	s_cbranch_vccnz .LBB33_33
; %bb.32:                               ;   in Loop: Header=BB33_9 Depth=1
	v_mul_hi_u32 v14, s9, v13
	s_delay_alu instid0(VALU_DEP_1) | instskip(NEXT) | instid1(VALU_DEP_1)
	v_add_nc_u32_e32 v14, v13, v14
	v_lshrrev_b32_e32 v14, s10, v14
	s_delay_alu instid0(VALU_DEP_1) | instskip(NEXT) | instid1(VALU_DEP_1)
	v_mul_lo_u32 v14, v14, s8
	v_sub_nc_u32_e32 v40, v13, v14
	s_delay_alu instid0(VALU_DEP_1) | instskip(NEXT) | instid1(VALU_DEP_1)
	v_mad_u64_u32 v[13:14], null, v40, s15, v[7:8]
	v_mov_b32_e32 v7, v13
.LBB33_33:                              ;   in Loop: Header=BB33_9 Depth=1
	v_lshrrev_b32_e32 v4, 11, v4
	s_delay_alu instid0(VALU_DEP_1) | instskip(SKIP_1) | instid1(VALU_DEP_2)
	v_cvt_f64_u32_e32 v[13:14], v4
	v_cvt_f64_u32_e32 v[3:4], v3
	v_ldexp_f64 v[13:14], v[13:14], 32
	s_delay_alu instid0(VALU_DEP_1) | instskip(NEXT) | instid1(VALU_DEP_1)
	v_add_f64 v[3:4], v[13:14], v[3:4]
	v_fma_f64 v[3:4], 0x3ca00000, v[3:4], 0x3ca00000
	s_delay_alu instid0(VALU_DEP_1) | instskip(NEXT) | instid1(VALU_DEP_1)
	v_cvt_f32_f64_e32 v3, v[3:4]
	v_cmp_gt_f32_e32 vcc_lo, 0x800000, v3
	v_cndmask_b32_e64 v4, 1.0, 0x4f800000, vcc_lo
	s_delay_alu instid0(VALU_DEP_1) | instskip(NEXT) | instid1(VALU_DEP_1)
	v_mul_f32_e32 v3, v3, v4
	v_log_f32_e32 v3, v3
	s_waitcnt_depctr 0xfff
	v_mul_f32_e32 v4, 0x3f317217, v3
	s_delay_alu instid0(VALU_DEP_1) | instskip(NEXT) | instid1(VALU_DEP_1)
	v_fma_f32 v13, 0x3f317217, v3, -v4
	v_fmac_f32_e32 v13, 0x3377d1cf, v3
	s_delay_alu instid0(VALU_DEP_1) | instskip(SKIP_2) | instid1(VALU_DEP_3)
	v_add_f32_e32 v4, v4, v13
	v_cndmask_b32_e64 v13, 0, 0x41b17218, vcc_lo
	v_cmp_gt_f32_e64 vcc_lo, 0x7f800000, |v3|
	v_cndmask_b32_e32 v3, v3, v4, vcc_lo
	s_delay_alu instid0(VALU_DEP_1) | instskip(NEXT) | instid1(VALU_DEP_1)
	v_sub_f32_e32 v3, v3, v13
	v_div_scale_f32 v4, null, v32, v32, v3
	s_delay_alu instid0(VALU_DEP_1) | instskip(SKIP_2) | instid1(VALU_DEP_1)
	v_rcp_f32_e32 v13, v4
	s_waitcnt_depctr 0xfff
	v_fma_f32 v14, -v4, v13, 1.0
	v_fmac_f32_e32 v13, v14, v13
	v_div_scale_f32 v14, vcc_lo, v3, v32, v3
	s_delay_alu instid0(VALU_DEP_1) | instskip(NEXT) | instid1(VALU_DEP_1)
	v_mul_f32_e32 v40, v14, v13
	v_fma_f32 v41, -v4, v40, v14
	s_delay_alu instid0(VALU_DEP_1) | instskip(NEXT) | instid1(VALU_DEP_1)
	v_fmac_f32_e32 v40, v41, v13
	v_fma_f32 v4, -v4, v40, v14
	s_delay_alu instid0(VALU_DEP_1) | instskip(NEXT) | instid1(VALU_DEP_1)
	v_div_fmas_f32 v4, v4, v13, v40
	v_div_fixup_f32 v3, v4, v32, v3
	s_delay_alu instid0(VALU_DEP_1) | instskip(NEXT) | instid1(VALU_DEP_1)
	v_ceil_f32_e32 v3, v3
	v_bfe_u32 v4, v3, 16, 1
	v_cmp_o_f32_e32 vcc_lo, v3, v3
	s_delay_alu instid0(VALU_DEP_2) | instskip(NEXT) | instid1(VALU_DEP_1)
	v_add3_u32 v4, v3, v4, 0x7fff
	v_lshrrev_b32_e32 v4, 16, v4
	s_delay_alu instid0(VALU_DEP_1)
	v_cndmask_b32_e32 v3, 0x7fc0, v4, vcc_lo
	global_store_b16 v7, v3, s[12:13]
.LBB33_34:                              ;   in Loop: Header=BB33_9 Depth=1
	s_or_b32 exec_lo, exec_lo, s35
	v_add_co_u32 v13, vcc_lo, v10, s24
	v_add_co_ci_u32_e32 v14, vcc_lo, 0, v11, vcc_lo
	s_mov_b32 s35, exec_lo
	s_delay_alu instid0(VALU_DEP_1)
	v_cmpx_gt_i64_e64 s[16:17], v[13:14]
	s_cbranch_execz .LBB33_49
; %bb.35:                               ;   in Loop: Header=BB33_9 Depth=1
	s_and_not1_b32 vcc_lo, exec_lo, s11
	s_cbranch_vccnz .LBB33_41
; %bb.36:                               ;   in Loop: Header=BB33_9 Depth=1
	v_mov_b32_e32 v3, 0
	s_and_not1_b32 vcc_lo, exec_lo, s27
	s_cbranch_vccnz .LBB33_45
; %bb.37:                               ;   in Loop: Header=BB33_9 Depth=1
	s_and_not1_b32 vcc_lo, exec_lo, s30
	s_mov_b32 s20, 0
	s_cbranch_vccnz .LBB33_42
; %bb.38:                               ;   in Loop: Header=BB33_9 Depth=1
	v_dual_mov_b32 v3, 0 :: v_dual_mov_b32 v4, v13
	s_mov_b32 s36, 0
	s_mov_b64 s[20:21], s[18:19]
	s_mov_b64 s[22:23], s[0:1]
.LBB33_39:                              ;   Parent Loop BB33_9 Depth=1
                                        ; =>  This Inner Loop Header: Depth=2
	s_clause 0x1
	s_load_b256 s[40:47], s[20:21], 0x4
	s_load_b128 s[48:51], s[20:21], 0x24
	s_load_b128 s[52:55], s[22:23], 0x0
	s_add_u32 s20, s20, 48
	s_addc_u32 s21, s21, 0
	s_add_i32 s36, s36, 4
	s_add_u32 s22, s22, 16
	s_addc_u32 s23, s23, 0
	s_cmp_eq_u32 s31, s36
	s_waitcnt lgkmcnt(0)
	v_mul_hi_u32 v7, s41, v4
	s_delay_alu instid0(VALU_DEP_1) | instskip(NEXT) | instid1(VALU_DEP_1)
	v_add_nc_u32_e32 v7, v4, v7
	v_lshrrev_b32_e32 v7, s42, v7
	s_delay_alu instid0(VALU_DEP_1) | instskip(SKIP_1) | instid1(VALU_DEP_2)
	v_mul_hi_u32 v14, s44, v7
	v_mul_lo_u32 v42, v7, s40
	v_add_nc_u32_e32 v14, v7, v14
	s_delay_alu instid0(VALU_DEP_2) | instskip(NEXT) | instid1(VALU_DEP_2)
	v_sub_nc_u32_e32 v42, v4, v42
	v_lshrrev_b32_e32 v14, s45, v14
	s_delay_alu instid0(VALU_DEP_2) | instskip(NEXT) | instid1(VALU_DEP_2)
	v_mul_lo_u32 v42, v42, s52
	v_mul_hi_u32 v40, s47, v14
	v_mul_lo_u32 v43, v14, s43
	s_delay_alu instid0(VALU_DEP_2) | instskip(NEXT) | instid1(VALU_DEP_2)
	v_add_nc_u32_e32 v40, v14, v40
	v_sub_nc_u32_e32 v7, v7, v43
	s_delay_alu instid0(VALU_DEP_2) | instskip(NEXT) | instid1(VALU_DEP_2)
	v_lshrrev_b32_e32 v40, s48, v40
	v_mul_lo_u32 v7, v7, s53
	s_delay_alu instid0(VALU_DEP_2) | instskip(NEXT) | instid1(VALU_DEP_2)
	v_mul_hi_u32 v41, s50, v40
	v_add3_u32 v3, v42, v3, v7
	s_delay_alu instid0(VALU_DEP_2) | instskip(NEXT) | instid1(VALU_DEP_1)
	v_add_nc_u32_e32 v41, v40, v41
	v_lshrrev_b32_e32 v4, s51, v41
	v_mul_lo_u32 v41, v40, s46
	s_delay_alu instid0(VALU_DEP_2) | instskip(NEXT) | instid1(VALU_DEP_2)
	v_mul_lo_u32 v44, v4, s49
	v_sub_nc_u32_e32 v14, v14, v41
	s_delay_alu instid0(VALU_DEP_2) | instskip(NEXT) | instid1(VALU_DEP_2)
	v_sub_nc_u32_e32 v40, v40, v44
	v_mul_lo_u32 v14, v14, s54
	s_delay_alu instid0(VALU_DEP_2) | instskip(NEXT) | instid1(VALU_DEP_1)
	v_mul_lo_u32 v40, v40, s55
	v_add3_u32 v3, v14, v3, v40
	s_cbranch_scc0 .LBB33_39
; %bb.40:                               ;   in Loop: Header=BB33_9 Depth=1
	s_mov_b32 s20, s31
	s_and_not1_b32 vcc_lo, exec_lo, s34
	s_cbranch_vccz .LBB33_43
	s_branch .LBB33_45
.LBB33_41:                              ;   in Loop: Header=BB33_9 Depth=1
                                        ; implicit-def: $vgpr3
	s_branch .LBB33_46
.LBB33_42:                              ;   in Loop: Header=BB33_9 Depth=1
	v_mov_b32_e32 v4, v13
	s_and_not1_b32 vcc_lo, exec_lo, s34
	s_cbranch_vccnz .LBB33_45
.LBB33_43:                              ;   in Loop: Header=BB33_9 Depth=1
	s_lshl_b32 s21, s20, 2
	s_mul_i32 s22, s20, 12
	s_add_u32 s20, s0, s21
	s_addc_u32 s21, s1, 0
	s_add_u32 s22, s18, s22
	s_addc_u32 s23, s19, 0
	s_mov_b32 s36, s29
	.p2align	6
.LBB33_44:                              ;   Parent Loop BB33_9 Depth=1
                                        ; =>  This Inner Loop Header: Depth=2
	s_clause 0x1
	s_load_b64 s[38:39], s[22:23], 0x4
	s_load_b32 s37, s[22:23], 0xc
	s_add_u32 s22, s22, 12
	s_addc_u32 s23, s23, 0
	s_waitcnt lgkmcnt(0)
	v_mul_hi_u32 v7, s39, v4
	s_load_b32 s39, s[20:21], 0x0
	s_add_u32 s20, s20, 4
	s_addc_u32 s21, s21, 0
	s_add_i32 s36, s36, -1
	s_delay_alu instid0(SALU_CYCLE_1) | instskip(NEXT) | instid1(VALU_DEP_1)
	s_cmp_lg_u32 s36, 0
	v_add_nc_u32_e32 v7, v4, v7
	s_delay_alu instid0(VALU_DEP_1) | instskip(NEXT) | instid1(VALU_DEP_1)
	v_lshrrev_b32_e32 v7, s37, v7
	v_mul_lo_u32 v14, v7, s38
	s_delay_alu instid0(VALU_DEP_1) | instskip(SKIP_1) | instid1(VALU_DEP_1)
	v_sub_nc_u32_e32 v4, v4, v14
	s_waitcnt lgkmcnt(0)
	v_mad_u64_u32 v[40:41], null, v4, s39, v[3:4]
	s_delay_alu instid0(VALU_DEP_1)
	v_dual_mov_b32 v4, v7 :: v_dual_mov_b32 v3, v40
	s_cbranch_scc1 .LBB33_44
.LBB33_45:                              ;   in Loop: Header=BB33_9 Depth=1
	s_cbranch_execnz .LBB33_48
.LBB33_46:                              ;   in Loop: Header=BB33_9 Depth=1
	v_mul_hi_u32 v3, v13, s6
	s_and_not1_b32 vcc_lo, exec_lo, s4
	s_delay_alu instid0(VALU_DEP_1) | instskip(NEXT) | instid1(VALU_DEP_1)
	v_add_nc_u32_e32 v3, v3, v13
	v_lshrrev_b32_e32 v4, s7, v3
	s_delay_alu instid0(VALU_DEP_1) | instskip(NEXT) | instid1(VALU_DEP_1)
	v_mul_lo_u32 v3, v4, s5
	v_sub_nc_u32_e32 v3, v13, v3
	s_delay_alu instid0(VALU_DEP_1)
	v_mul_lo_u32 v3, v3, s14
	s_cbranch_vccnz .LBB33_48
; %bb.47:                               ;   in Loop: Header=BB33_9 Depth=1
	v_mul_hi_u32 v7, s9, v4
	s_delay_alu instid0(VALU_DEP_1) | instskip(NEXT) | instid1(VALU_DEP_1)
	v_add_nc_u32_e32 v7, v4, v7
	v_lshrrev_b32_e32 v7, s10, v7
	s_delay_alu instid0(VALU_DEP_1) | instskip(NEXT) | instid1(VALU_DEP_1)
	v_mul_lo_u32 v7, v7, s8
	v_sub_nc_u32_e32 v4, v4, v7
	s_delay_alu instid0(VALU_DEP_1) | instskip(NEXT) | instid1(VALU_DEP_1)
	v_mad_u64_u32 v[13:14], null, v4, s15, v[3:4]
	v_mov_b32_e32 v3, v13
.LBB33_48:                              ;   in Loop: Header=BB33_9 Depth=1
	v_lshrrev_b32_e32 v4, 11, v6
	s_delay_alu instid0(VALU_DEP_1) | instskip(SKIP_1) | instid1(VALU_DEP_2)
	v_cvt_f64_u32_e32 v[6:7], v4
	v_cvt_f64_u32_e32 v[4:5], v5
	v_ldexp_f64 v[6:7], v[6:7], 32
	s_delay_alu instid0(VALU_DEP_1) | instskip(NEXT) | instid1(VALU_DEP_1)
	v_add_f64 v[4:5], v[6:7], v[4:5]
	v_fma_f64 v[4:5], 0x3ca00000, v[4:5], 0x3ca00000
	s_delay_alu instid0(VALU_DEP_1) | instskip(NEXT) | instid1(VALU_DEP_1)
	v_cvt_f32_f64_e32 v4, v[4:5]
	v_cmp_gt_f32_e32 vcc_lo, 0x800000, v4
	v_cndmask_b32_e64 v5, 1.0, 0x4f800000, vcc_lo
	s_delay_alu instid0(VALU_DEP_1) | instskip(NEXT) | instid1(VALU_DEP_1)
	v_mul_f32_e32 v4, v4, v5
	v_log_f32_e32 v4, v4
	s_waitcnt_depctr 0xfff
	v_mul_f32_e32 v5, 0x3f317217, v4
	s_delay_alu instid0(VALU_DEP_1) | instskip(NEXT) | instid1(VALU_DEP_1)
	v_fma_f32 v6, 0x3f317217, v4, -v5
	v_fmac_f32_e32 v6, 0x3377d1cf, v4
	s_delay_alu instid0(VALU_DEP_1) | instskip(SKIP_2) | instid1(VALU_DEP_3)
	v_add_f32_e32 v5, v5, v6
	v_cndmask_b32_e64 v6, 0, 0x41b17218, vcc_lo
	v_cmp_gt_f32_e64 vcc_lo, 0x7f800000, |v4|
	v_cndmask_b32_e32 v4, v4, v5, vcc_lo
	s_delay_alu instid0(VALU_DEP_1) | instskip(NEXT) | instid1(VALU_DEP_1)
	v_sub_f32_e32 v4, v4, v6
	v_div_scale_f32 v5, null, v32, v32, v4
	s_delay_alu instid0(VALU_DEP_1) | instskip(SKIP_2) | instid1(VALU_DEP_1)
	v_rcp_f32_e32 v6, v5
	s_waitcnt_depctr 0xfff
	v_fma_f32 v7, -v5, v6, 1.0
	v_fmac_f32_e32 v6, v7, v6
	v_div_scale_f32 v7, vcc_lo, v4, v32, v4
	s_delay_alu instid0(VALU_DEP_1) | instskip(NEXT) | instid1(VALU_DEP_1)
	v_mul_f32_e32 v13, v7, v6
	v_fma_f32 v14, -v5, v13, v7
	s_delay_alu instid0(VALU_DEP_1) | instskip(NEXT) | instid1(VALU_DEP_1)
	v_fmac_f32_e32 v13, v14, v6
	v_fma_f32 v5, -v5, v13, v7
	s_delay_alu instid0(VALU_DEP_1) | instskip(NEXT) | instid1(VALU_DEP_1)
	v_div_fmas_f32 v5, v5, v6, v13
	v_div_fixup_f32 v4, v5, v32, v4
	s_delay_alu instid0(VALU_DEP_1) | instskip(NEXT) | instid1(VALU_DEP_1)
	v_ceil_f32_e32 v4, v4
	v_bfe_u32 v5, v4, 16, 1
	v_cmp_o_f32_e32 vcc_lo, v4, v4
	s_delay_alu instid0(VALU_DEP_2) | instskip(NEXT) | instid1(VALU_DEP_1)
	v_add3_u32 v5, v4, v5, 0x7fff
	v_lshrrev_b32_e32 v5, 16, v5
	s_delay_alu instid0(VALU_DEP_1)
	v_cndmask_b32_e32 v4, 0x7fc0, v5, vcc_lo
	global_store_b16 v3, v4, s[12:13]
.LBB33_49:                              ;   in Loop: Header=BB33_9 Depth=1
	s_or_b32 exec_lo, exec_lo, s35
	v_add_co_u32 v3, vcc_lo, v10, s28
	v_add_co_ci_u32_e32 v4, vcc_lo, 0, v11, vcc_lo
	s_mov_b32 s35, exec_lo
	s_delay_alu instid0(VALU_DEP_1)
	v_cmpx_gt_i64_e64 s[16:17], v[3:4]
	s_cbranch_execz .LBB33_64
; %bb.50:                               ;   in Loop: Header=BB33_9 Depth=1
	s_and_not1_b32 vcc_lo, exec_lo, s11
	s_cbranch_vccnz .LBB33_56
; %bb.51:                               ;   in Loop: Header=BB33_9 Depth=1
	v_mov_b32_e32 v4, 0
	s_and_not1_b32 vcc_lo, exec_lo, s27
	s_cbranch_vccnz .LBB33_60
; %bb.52:                               ;   in Loop: Header=BB33_9 Depth=1
	s_and_not1_b32 vcc_lo, exec_lo, s30
	s_mov_b32 s20, 0
	s_cbranch_vccnz .LBB33_57
; %bb.53:                               ;   in Loop: Header=BB33_9 Depth=1
	v_dual_mov_b32 v4, 0 :: v_dual_mov_b32 v5, v3
	s_mov_b32 s36, 0
	s_mov_b64 s[20:21], s[18:19]
	s_mov_b64 s[22:23], s[0:1]
.LBB33_54:                              ;   Parent Loop BB33_9 Depth=1
                                        ; =>  This Inner Loop Header: Depth=2
	s_clause 0x1
	s_load_b256 s[40:47], s[20:21], 0x4
	s_load_b128 s[48:51], s[20:21], 0x24
	s_load_b128 s[52:55], s[22:23], 0x0
	s_add_u32 s20, s20, 48
	s_addc_u32 s21, s21, 0
	s_add_i32 s36, s36, 4
	s_add_u32 s22, s22, 16
	s_addc_u32 s23, s23, 0
	s_cmp_eq_u32 s31, s36
	s_waitcnt lgkmcnt(0)
	v_mul_hi_u32 v6, s41, v5
	s_delay_alu instid0(VALU_DEP_1) | instskip(NEXT) | instid1(VALU_DEP_1)
	v_add_nc_u32_e32 v6, v5, v6
	v_lshrrev_b32_e32 v6, s42, v6
	s_delay_alu instid0(VALU_DEP_1) | instskip(SKIP_1) | instid1(VALU_DEP_2)
	v_mul_hi_u32 v7, s44, v6
	v_mul_lo_u32 v40, v6, s40
	v_add_nc_u32_e32 v7, v6, v7
	s_delay_alu instid0(VALU_DEP_2) | instskip(NEXT) | instid1(VALU_DEP_2)
	v_sub_nc_u32_e32 v40, v5, v40
	v_lshrrev_b32_e32 v7, s45, v7
	s_delay_alu instid0(VALU_DEP_2) | instskip(NEXT) | instid1(VALU_DEP_2)
	v_mul_lo_u32 v40, v40, s52
	v_mul_hi_u32 v13, s47, v7
	v_mul_lo_u32 v41, v7, s43
	s_delay_alu instid0(VALU_DEP_2) | instskip(NEXT) | instid1(VALU_DEP_2)
	v_add_nc_u32_e32 v13, v7, v13
	v_sub_nc_u32_e32 v6, v6, v41
	s_delay_alu instid0(VALU_DEP_2) | instskip(NEXT) | instid1(VALU_DEP_2)
	v_lshrrev_b32_e32 v13, s48, v13
	v_mul_lo_u32 v6, v6, s53
	s_delay_alu instid0(VALU_DEP_2) | instskip(NEXT) | instid1(VALU_DEP_2)
	v_mul_hi_u32 v14, s50, v13
	v_add3_u32 v4, v40, v4, v6
	s_delay_alu instid0(VALU_DEP_2) | instskip(NEXT) | instid1(VALU_DEP_1)
	v_add_nc_u32_e32 v14, v13, v14
	v_lshrrev_b32_e32 v5, s51, v14
	v_mul_lo_u32 v14, v13, s46
	s_delay_alu instid0(VALU_DEP_2) | instskip(NEXT) | instid1(VALU_DEP_2)
	v_mul_lo_u32 v42, v5, s49
	v_sub_nc_u32_e32 v7, v7, v14
	s_delay_alu instid0(VALU_DEP_2) | instskip(NEXT) | instid1(VALU_DEP_2)
	v_sub_nc_u32_e32 v13, v13, v42
	v_mul_lo_u32 v7, v7, s54
	s_delay_alu instid0(VALU_DEP_2) | instskip(NEXT) | instid1(VALU_DEP_1)
	v_mul_lo_u32 v13, v13, s55
	v_add3_u32 v4, v7, v4, v13
	s_cbranch_scc0 .LBB33_54
; %bb.55:                               ;   in Loop: Header=BB33_9 Depth=1
	s_mov_b32 s20, s31
	s_and_not1_b32 vcc_lo, exec_lo, s34
	s_cbranch_vccz .LBB33_58
	s_branch .LBB33_60
.LBB33_56:                              ;   in Loop: Header=BB33_9 Depth=1
                                        ; implicit-def: $vgpr4
	s_branch .LBB33_61
.LBB33_57:                              ;   in Loop: Header=BB33_9 Depth=1
	v_mov_b32_e32 v5, v3
	s_and_not1_b32 vcc_lo, exec_lo, s34
	s_cbranch_vccnz .LBB33_60
.LBB33_58:                              ;   in Loop: Header=BB33_9 Depth=1
	s_lshl_b32 s21, s20, 2
	s_mul_i32 s22, s20, 12
	s_add_u32 s20, s0, s21
	s_addc_u32 s21, s1, 0
	s_add_u32 s22, s18, s22
	s_addc_u32 s23, s19, 0
	s_mov_b32 s36, s29
	.p2align	6
.LBB33_59:                              ;   Parent Loop BB33_9 Depth=1
                                        ; =>  This Inner Loop Header: Depth=2
	s_clause 0x1
	s_load_b64 s[38:39], s[22:23], 0x4
	s_load_b32 s37, s[22:23], 0xc
	s_add_u32 s22, s22, 12
	s_addc_u32 s23, s23, 0
	s_waitcnt lgkmcnt(0)
	v_mul_hi_u32 v6, s39, v5
	s_load_b32 s39, s[20:21], 0x0
	s_add_u32 s20, s20, 4
	s_addc_u32 s21, s21, 0
	s_add_i32 s36, s36, -1
	s_delay_alu instid0(SALU_CYCLE_1) | instskip(NEXT) | instid1(VALU_DEP_1)
	s_cmp_lg_u32 s36, 0
	v_add_nc_u32_e32 v6, v5, v6
	s_delay_alu instid0(VALU_DEP_1) | instskip(NEXT) | instid1(VALU_DEP_1)
	v_lshrrev_b32_e32 v13, s37, v6
	v_mul_lo_u32 v6, v13, s38
	s_delay_alu instid0(VALU_DEP_1) | instskip(SKIP_1) | instid1(VALU_DEP_1)
	v_sub_nc_u32_e32 v5, v5, v6
	s_waitcnt lgkmcnt(0)
	v_mad_u64_u32 v[6:7], null, v5, s39, v[4:5]
	s_delay_alu instid0(VALU_DEP_1)
	v_dual_mov_b32 v5, v13 :: v_dual_mov_b32 v4, v6
	s_cbranch_scc1 .LBB33_59
.LBB33_60:                              ;   in Loop: Header=BB33_9 Depth=1
	s_cbranch_execnz .LBB33_63
.LBB33_61:                              ;   in Loop: Header=BB33_9 Depth=1
	v_mul_hi_u32 v4, v3, s6
	s_and_not1_b32 vcc_lo, exec_lo, s4
	s_delay_alu instid0(VALU_DEP_1) | instskip(NEXT) | instid1(VALU_DEP_1)
	v_add_nc_u32_e32 v4, v4, v3
	v_lshrrev_b32_e32 v5, s7, v4
	s_delay_alu instid0(VALU_DEP_1) | instskip(NEXT) | instid1(VALU_DEP_1)
	v_mul_lo_u32 v4, v5, s5
	v_sub_nc_u32_e32 v3, v3, v4
	s_delay_alu instid0(VALU_DEP_1)
	v_mul_lo_u32 v4, v3, s14
	s_cbranch_vccnz .LBB33_63
; %bb.62:                               ;   in Loop: Header=BB33_9 Depth=1
	v_mul_hi_u32 v3, s9, v5
	s_delay_alu instid0(VALU_DEP_1) | instskip(NEXT) | instid1(VALU_DEP_1)
	v_add_nc_u32_e32 v3, v5, v3
	v_lshrrev_b32_e32 v3, s10, v3
	s_delay_alu instid0(VALU_DEP_1) | instskip(NEXT) | instid1(VALU_DEP_1)
	v_mul_lo_u32 v3, v3, s8
	v_sub_nc_u32_e32 v3, v5, v3
	s_delay_alu instid0(VALU_DEP_1) | instskip(NEXT) | instid1(VALU_DEP_1)
	v_mad_u64_u32 v[5:6], null, v3, s15, v[4:5]
	v_mov_b32_e32 v4, v5
.LBB33_63:                              ;   in Loop: Header=BB33_9 Depth=1
	global_store_b16 v4, v38, s[12:13]
.LBB33_64:                              ;   in Loop: Header=BB33_9 Depth=1
	s_or_b32 exec_lo, exec_lo, s35
	v_add_co_u32 v3, vcc_lo, v10, s33
	v_add_co_ci_u32_e32 v4, vcc_lo, 0, v11, vcc_lo
	s_mov_b32 s35, exec_lo
	s_delay_alu instid0(VALU_DEP_1)
	v_cmpx_gt_i64_e64 s[16:17], v[3:4]
	s_cbranch_execz .LBB33_8
; %bb.65:                               ;   in Loop: Header=BB33_9 Depth=1
	s_and_not1_b32 vcc_lo, exec_lo, s11
	s_cbranch_vccnz .LBB33_71
; %bb.66:                               ;   in Loop: Header=BB33_9 Depth=1
	v_mov_b32_e32 v4, 0
	s_and_not1_b32 vcc_lo, exec_lo, s27
	s_cbranch_vccnz .LBB33_75
; %bb.67:                               ;   in Loop: Header=BB33_9 Depth=1
	s_and_not1_b32 vcc_lo, exec_lo, s30
	s_mov_b32 s20, 0
	s_cbranch_vccnz .LBB33_72
; %bb.68:                               ;   in Loop: Header=BB33_9 Depth=1
	v_dual_mov_b32 v4, 0 :: v_dual_mov_b32 v5, v3
	s_mov_b32 s36, 0
	s_mov_b64 s[20:21], s[18:19]
	s_mov_b64 s[22:23], s[0:1]
.LBB33_69:                              ;   Parent Loop BB33_9 Depth=1
                                        ; =>  This Inner Loop Header: Depth=2
	s_clause 0x1
	s_load_b256 s[40:47], s[20:21], 0x4
	s_load_b128 s[48:51], s[20:21], 0x24
	s_load_b128 s[52:55], s[22:23], 0x0
	s_add_u32 s20, s20, 48
	s_addc_u32 s21, s21, 0
	s_add_i32 s36, s36, 4
	s_add_u32 s22, s22, 16
	s_addc_u32 s23, s23, 0
	s_cmp_eq_u32 s31, s36
	s_waitcnt lgkmcnt(0)
	v_mul_hi_u32 v6, s41, v5
	s_delay_alu instid0(VALU_DEP_1) | instskip(NEXT) | instid1(VALU_DEP_1)
	v_add_nc_u32_e32 v6, v5, v6
	v_lshrrev_b32_e32 v6, s42, v6
	s_delay_alu instid0(VALU_DEP_1) | instskip(SKIP_1) | instid1(VALU_DEP_2)
	v_mul_hi_u32 v7, s44, v6
	v_mul_lo_u32 v40, v6, s40
	v_add_nc_u32_e32 v7, v6, v7
	s_delay_alu instid0(VALU_DEP_2) | instskip(NEXT) | instid1(VALU_DEP_2)
	v_sub_nc_u32_e32 v40, v5, v40
	v_lshrrev_b32_e32 v7, s45, v7
	s_delay_alu instid0(VALU_DEP_2) | instskip(NEXT) | instid1(VALU_DEP_2)
	v_mul_lo_u32 v40, v40, s52
	v_mul_hi_u32 v13, s47, v7
	v_mul_lo_u32 v41, v7, s43
	s_delay_alu instid0(VALU_DEP_2) | instskip(NEXT) | instid1(VALU_DEP_2)
	v_add_nc_u32_e32 v13, v7, v13
	v_sub_nc_u32_e32 v6, v6, v41
	s_delay_alu instid0(VALU_DEP_2) | instskip(NEXT) | instid1(VALU_DEP_2)
	v_lshrrev_b32_e32 v13, s48, v13
	v_mul_lo_u32 v6, v6, s53
	s_delay_alu instid0(VALU_DEP_2) | instskip(NEXT) | instid1(VALU_DEP_2)
	v_mul_hi_u32 v14, s50, v13
	v_add3_u32 v4, v40, v4, v6
	s_delay_alu instid0(VALU_DEP_2) | instskip(NEXT) | instid1(VALU_DEP_1)
	v_add_nc_u32_e32 v14, v13, v14
	v_lshrrev_b32_e32 v5, s51, v14
	v_mul_lo_u32 v14, v13, s46
	s_delay_alu instid0(VALU_DEP_2) | instskip(NEXT) | instid1(VALU_DEP_2)
	v_mul_lo_u32 v42, v5, s49
	v_sub_nc_u32_e32 v7, v7, v14
	s_delay_alu instid0(VALU_DEP_2) | instskip(NEXT) | instid1(VALU_DEP_2)
	v_sub_nc_u32_e32 v13, v13, v42
	v_mul_lo_u32 v7, v7, s54
	s_delay_alu instid0(VALU_DEP_2) | instskip(NEXT) | instid1(VALU_DEP_1)
	v_mul_lo_u32 v13, v13, s55
	v_add3_u32 v4, v7, v4, v13
	s_cbranch_scc0 .LBB33_69
; %bb.70:                               ;   in Loop: Header=BB33_9 Depth=1
	s_mov_b32 s20, s31
	s_and_not1_b32 vcc_lo, exec_lo, s34
	s_cbranch_vccz .LBB33_73
	s_branch .LBB33_75
.LBB33_71:                              ;   in Loop: Header=BB33_9 Depth=1
                                        ; implicit-def: $vgpr4
	s_branch .LBB33_76
.LBB33_72:                              ;   in Loop: Header=BB33_9 Depth=1
	v_mov_b32_e32 v5, v3
	s_and_not1_b32 vcc_lo, exec_lo, s34
	s_cbranch_vccnz .LBB33_75
.LBB33_73:                              ;   in Loop: Header=BB33_9 Depth=1
	s_lshl_b32 s21, s20, 2
	s_mul_i32 s22, s20, 12
	s_add_u32 s20, s0, s21
	s_addc_u32 s21, s1, 0
	s_add_u32 s22, s18, s22
	s_addc_u32 s23, s19, 0
	s_mov_b32 s36, s29
	.p2align	6
.LBB33_74:                              ;   Parent Loop BB33_9 Depth=1
                                        ; =>  This Inner Loop Header: Depth=2
	s_clause 0x1
	s_load_b64 s[38:39], s[22:23], 0x4
	s_load_b32 s37, s[22:23], 0xc
	s_add_u32 s22, s22, 12
	s_addc_u32 s23, s23, 0
	s_waitcnt lgkmcnt(0)
	v_mul_hi_u32 v6, s39, v5
	s_load_b32 s39, s[20:21], 0x0
	s_add_u32 s20, s20, 4
	s_addc_u32 s21, s21, 0
	s_add_i32 s36, s36, -1
	s_delay_alu instid0(SALU_CYCLE_1) | instskip(NEXT) | instid1(VALU_DEP_1)
	s_cmp_lg_u32 s36, 0
	v_add_nc_u32_e32 v6, v5, v6
	s_delay_alu instid0(VALU_DEP_1) | instskip(NEXT) | instid1(VALU_DEP_1)
	v_lshrrev_b32_e32 v13, s37, v6
	v_mul_lo_u32 v6, v13, s38
	s_delay_alu instid0(VALU_DEP_1) | instskip(SKIP_1) | instid1(VALU_DEP_1)
	v_sub_nc_u32_e32 v5, v5, v6
	s_waitcnt lgkmcnt(0)
	v_mad_u64_u32 v[6:7], null, v5, s39, v[4:5]
	s_delay_alu instid0(VALU_DEP_1)
	v_dual_mov_b32 v5, v13 :: v_dual_mov_b32 v4, v6
	s_cbranch_scc1 .LBB33_74
.LBB33_75:                              ;   in Loop: Header=BB33_9 Depth=1
	s_cbranch_execnz .LBB33_7
.LBB33_76:                              ;   in Loop: Header=BB33_9 Depth=1
	v_mul_hi_u32 v4, v3, s6
	s_and_not1_b32 vcc_lo, exec_lo, s4
	s_delay_alu instid0(VALU_DEP_1) | instskip(NEXT) | instid1(VALU_DEP_1)
	v_add_nc_u32_e32 v4, v4, v3
	v_lshrrev_b32_e32 v5, s7, v4
	s_delay_alu instid0(VALU_DEP_1) | instskip(NEXT) | instid1(VALU_DEP_1)
	v_mul_lo_u32 v4, v5, s5
	v_sub_nc_u32_e32 v3, v3, v4
	s_delay_alu instid0(VALU_DEP_1)
	v_mul_lo_u32 v4, v3, s14
	s_cbranch_vccnz .LBB33_7
; %bb.77:                               ;   in Loop: Header=BB33_9 Depth=1
	v_mul_hi_u32 v3, s9, v5
	s_delay_alu instid0(VALU_DEP_1) | instskip(NEXT) | instid1(VALU_DEP_1)
	v_add_nc_u32_e32 v3, v5, v3
	v_lshrrev_b32_e32 v3, s10, v3
	s_delay_alu instid0(VALU_DEP_1) | instskip(NEXT) | instid1(VALU_DEP_1)
	v_mul_lo_u32 v3, v3, s8
	v_sub_nc_u32_e32 v3, v5, v3
	s_delay_alu instid0(VALU_DEP_1) | instskip(NEXT) | instid1(VALU_DEP_1)
	v_mad_u64_u32 v[5:6], null, v3, s15, v[4:5]
	v_mov_b32_e32 v4, v5
	s_branch .LBB33_7
.LBB33_78:
	s_endpgm
.LBB33_79:
                                        ; implicit-def: $sgpr2_sgpr3
	s_branch .LBB33_4
	.section	.rodata,"a",@progbits
	.p2align	6, 0x0
	.amdhsa_kernel _ZN2at6native12_GLOBAL__N_143distribution_elementwise_grid_stride_kernelIfLi4EZNS0_9templates4cuda21uniform_and_transformIN3c108BFloat16EfPNS_17CUDAGeneratorImplEZZZNS4_16geometric_kernelIS9_EEvRNS_18TensorIteratorBaseEdT_ENKUlvE_clEvENKUlvE7_clEvEUlfE_EEvSC_T1_T2_EUlP25hiprandStatePhilox4_32_10E_ZNS1_27distribution_nullary_kernelIS7_f15HIP_vector_typeIdLj2EES9_SL_SG_EEvSC_SI_RKT3_T4_EUlifE0_EEvlNS_15PhiloxCudaStateESH_SI_
		.amdhsa_group_segment_fixed_size 0
		.amdhsa_private_segment_fixed_size 0
		.amdhsa_kernarg_size 584
		.amdhsa_user_sgpr_count 15
		.amdhsa_user_sgpr_dispatch_ptr 0
		.amdhsa_user_sgpr_queue_ptr 0
		.amdhsa_user_sgpr_kernarg_segment_ptr 1
		.amdhsa_user_sgpr_dispatch_id 0
		.amdhsa_user_sgpr_private_segment_size 0
		.amdhsa_wavefront_size32 1
		.amdhsa_uses_dynamic_stack 0
		.amdhsa_enable_private_segment 0
		.amdhsa_system_sgpr_workgroup_id_x 1
		.amdhsa_system_sgpr_workgroup_id_y 0
		.amdhsa_system_sgpr_workgroup_id_z 0
		.amdhsa_system_sgpr_workgroup_info 0
		.amdhsa_system_vgpr_workitem_id 0
		.amdhsa_next_free_vgpr 46
		.amdhsa_next_free_sgpr 56
		.amdhsa_reserve_vcc 1
		.amdhsa_float_round_mode_32 0
		.amdhsa_float_round_mode_16_64 0
		.amdhsa_float_denorm_mode_32 3
		.amdhsa_float_denorm_mode_16_64 3
		.amdhsa_dx10_clamp 1
		.amdhsa_ieee_mode 1
		.amdhsa_fp16_overflow 0
		.amdhsa_workgroup_processor_mode 1
		.amdhsa_memory_ordered 1
		.amdhsa_forward_progress 0
		.amdhsa_shared_vgpr_count 0
		.amdhsa_exception_fp_ieee_invalid_op 0
		.amdhsa_exception_fp_denorm_src 0
		.amdhsa_exception_fp_ieee_div_zero 0
		.amdhsa_exception_fp_ieee_overflow 0
		.amdhsa_exception_fp_ieee_underflow 0
		.amdhsa_exception_fp_ieee_inexact 0
		.amdhsa_exception_int_div_zero 0
	.end_amdhsa_kernel
	.section	.text._ZN2at6native12_GLOBAL__N_143distribution_elementwise_grid_stride_kernelIfLi4EZNS0_9templates4cuda21uniform_and_transformIN3c108BFloat16EfPNS_17CUDAGeneratorImplEZZZNS4_16geometric_kernelIS9_EEvRNS_18TensorIteratorBaseEdT_ENKUlvE_clEvENKUlvE7_clEvEUlfE_EEvSC_T1_T2_EUlP25hiprandStatePhilox4_32_10E_ZNS1_27distribution_nullary_kernelIS7_f15HIP_vector_typeIdLj2EES9_SL_SG_EEvSC_SI_RKT3_T4_EUlifE0_EEvlNS_15PhiloxCudaStateESH_SI_,"axG",@progbits,_ZN2at6native12_GLOBAL__N_143distribution_elementwise_grid_stride_kernelIfLi4EZNS0_9templates4cuda21uniform_and_transformIN3c108BFloat16EfPNS_17CUDAGeneratorImplEZZZNS4_16geometric_kernelIS9_EEvRNS_18TensorIteratorBaseEdT_ENKUlvE_clEvENKUlvE7_clEvEUlfE_EEvSC_T1_T2_EUlP25hiprandStatePhilox4_32_10E_ZNS1_27distribution_nullary_kernelIS7_f15HIP_vector_typeIdLj2EES9_SL_SG_EEvSC_SI_RKT3_T4_EUlifE0_EEvlNS_15PhiloxCudaStateESH_SI_,comdat
.Lfunc_end33:
	.size	_ZN2at6native12_GLOBAL__N_143distribution_elementwise_grid_stride_kernelIfLi4EZNS0_9templates4cuda21uniform_and_transformIN3c108BFloat16EfPNS_17CUDAGeneratorImplEZZZNS4_16geometric_kernelIS9_EEvRNS_18TensorIteratorBaseEdT_ENKUlvE_clEvENKUlvE7_clEvEUlfE_EEvSC_T1_T2_EUlP25hiprandStatePhilox4_32_10E_ZNS1_27distribution_nullary_kernelIS7_f15HIP_vector_typeIdLj2EES9_SL_SG_EEvSC_SI_RKT3_T4_EUlifE0_EEvlNS_15PhiloxCudaStateESH_SI_, .Lfunc_end33-_ZN2at6native12_GLOBAL__N_143distribution_elementwise_grid_stride_kernelIfLi4EZNS0_9templates4cuda21uniform_and_transformIN3c108BFloat16EfPNS_17CUDAGeneratorImplEZZZNS4_16geometric_kernelIS9_EEvRNS_18TensorIteratorBaseEdT_ENKUlvE_clEvENKUlvE7_clEvEUlfE_EEvSC_T1_T2_EUlP25hiprandStatePhilox4_32_10E_ZNS1_27distribution_nullary_kernelIS7_f15HIP_vector_typeIdLj2EES9_SL_SG_EEvSC_SI_RKT3_T4_EUlifE0_EEvlNS_15PhiloxCudaStateESH_SI_
                                        ; -- End function
	.section	.AMDGPU.csdata,"",@progbits
; Kernel info:
; codeLenInByte = 6652
; NumSgprs: 58
; NumVgprs: 46
; ScratchSize: 0
; MemoryBound: 0
; FloatMode: 240
; IeeeMode: 1
; LDSByteSize: 0 bytes/workgroup (compile time only)
; SGPRBlocks: 7
; VGPRBlocks: 5
; NumSGPRsForWavesPerEU: 58
; NumVGPRsForWavesPerEU: 46
; Occupancy: 16
; WaveLimiterHint : 1
; COMPUTE_PGM_RSRC2:SCRATCH_EN: 0
; COMPUTE_PGM_RSRC2:USER_SGPR: 15
; COMPUTE_PGM_RSRC2:TRAP_HANDLER: 0
; COMPUTE_PGM_RSRC2:TGID_X_EN: 1
; COMPUTE_PGM_RSRC2:TGID_Y_EN: 0
; COMPUTE_PGM_RSRC2:TGID_Z_EN: 0
; COMPUTE_PGM_RSRC2:TIDIG_COMP_CNT: 0
	.section	.text._ZN2at6native12_GLOBAL__N_143distribution_elementwise_grid_stride_kernelIfLi4EZNS0_9templates4cuda21uniform_and_transformIN3c108BFloat16EfPNS_17CUDAGeneratorImplEZZZNS4_16geometric_kernelIS9_EEvRNS_18TensorIteratorBaseEdT_ENKUlvE_clEvENKUlvE7_clEvEUlfE_EEvSC_T1_T2_EUlP25hiprandStatePhilox4_32_10E0_ZNS1_27distribution_nullary_kernelIS7_f15HIP_vector_typeIfLj4EES9_SL_SG_EEvSC_SI_RKT3_T4_EUlifE_EEvlNS_15PhiloxCudaStateESH_SI_,"axG",@progbits,_ZN2at6native12_GLOBAL__N_143distribution_elementwise_grid_stride_kernelIfLi4EZNS0_9templates4cuda21uniform_and_transformIN3c108BFloat16EfPNS_17CUDAGeneratorImplEZZZNS4_16geometric_kernelIS9_EEvRNS_18TensorIteratorBaseEdT_ENKUlvE_clEvENKUlvE7_clEvEUlfE_EEvSC_T1_T2_EUlP25hiprandStatePhilox4_32_10E0_ZNS1_27distribution_nullary_kernelIS7_f15HIP_vector_typeIfLj4EES9_SL_SG_EEvSC_SI_RKT3_T4_EUlifE_EEvlNS_15PhiloxCudaStateESH_SI_,comdat
	.globl	_ZN2at6native12_GLOBAL__N_143distribution_elementwise_grid_stride_kernelIfLi4EZNS0_9templates4cuda21uniform_and_transformIN3c108BFloat16EfPNS_17CUDAGeneratorImplEZZZNS4_16geometric_kernelIS9_EEvRNS_18TensorIteratorBaseEdT_ENKUlvE_clEvENKUlvE7_clEvEUlfE_EEvSC_T1_T2_EUlP25hiprandStatePhilox4_32_10E0_ZNS1_27distribution_nullary_kernelIS7_f15HIP_vector_typeIfLj4EES9_SL_SG_EEvSC_SI_RKT3_T4_EUlifE_EEvlNS_15PhiloxCudaStateESH_SI_ ; -- Begin function _ZN2at6native12_GLOBAL__N_143distribution_elementwise_grid_stride_kernelIfLi4EZNS0_9templates4cuda21uniform_and_transformIN3c108BFloat16EfPNS_17CUDAGeneratorImplEZZZNS4_16geometric_kernelIS9_EEvRNS_18TensorIteratorBaseEdT_ENKUlvE_clEvENKUlvE7_clEvEUlfE_EEvSC_T1_T2_EUlP25hiprandStatePhilox4_32_10E0_ZNS1_27distribution_nullary_kernelIS7_f15HIP_vector_typeIfLj4EES9_SL_SG_EEvSC_SI_RKT3_T4_EUlifE_EEvlNS_15PhiloxCudaStateESH_SI_
	.p2align	8
	.type	_ZN2at6native12_GLOBAL__N_143distribution_elementwise_grid_stride_kernelIfLi4EZNS0_9templates4cuda21uniform_and_transformIN3c108BFloat16EfPNS_17CUDAGeneratorImplEZZZNS4_16geometric_kernelIS9_EEvRNS_18TensorIteratorBaseEdT_ENKUlvE_clEvENKUlvE7_clEvEUlfE_EEvSC_T1_T2_EUlP25hiprandStatePhilox4_32_10E0_ZNS1_27distribution_nullary_kernelIS7_f15HIP_vector_typeIfLj4EES9_SL_SG_EEvSC_SI_RKT3_T4_EUlifE_EEvlNS_15PhiloxCudaStateESH_SI_,@function
_ZN2at6native12_GLOBAL__N_143distribution_elementwise_grid_stride_kernelIfLi4EZNS0_9templates4cuda21uniform_and_transformIN3c108BFloat16EfPNS_17CUDAGeneratorImplEZZZNS4_16geometric_kernelIS9_EEvRNS_18TensorIteratorBaseEdT_ENKUlvE_clEvENKUlvE7_clEvEUlfE_EEvSC_T1_T2_EUlP25hiprandStatePhilox4_32_10E0_ZNS1_27distribution_nullary_kernelIS7_f15HIP_vector_typeIfLj4EES9_SL_SG_EEvSC_SI_RKT3_T4_EUlifE_EEvlNS_15PhiloxCudaStateESH_SI_: ; @_ZN2at6native12_GLOBAL__N_143distribution_elementwise_grid_stride_kernelIfLi4EZNS0_9templates4cuda21uniform_and_transformIN3c108BFloat16EfPNS_17CUDAGeneratorImplEZZZNS4_16geometric_kernelIS9_EEvRNS_18TensorIteratorBaseEdT_ENKUlvE_clEvENKUlvE7_clEvEUlfE_EEvSC_T1_T2_EUlP25hiprandStatePhilox4_32_10E0_ZNS1_27distribution_nullary_kernelIS7_f15HIP_vector_typeIfLj4EES9_SL_SG_EEvSC_SI_RKT3_T4_EUlifE_EEvlNS_15PhiloxCudaStateESH_SI_
; %bb.0:
	s_clause 0x2
	s_load_b64 s[8:9], s[0:1], 0x10
	s_load_b128 s[4:7], s[0:1], 0x0
	s_load_b32 s2, s[0:1], 0x20
	s_waitcnt lgkmcnt(0)
	v_dual_mov_b32 v2, s8 :: v_dual_mov_b32 v3, s9
	v_dual_mov_b32 v12, s7 :: v_dual_mov_b32 v11, s6
	s_bitcmp0_b32 s2, 0
	s_mov_b32 s2, 0
	s_cbranch_scc1 .LBB34_2
; %bb.1:
	v_dual_mov_b32 v1, s8 :: v_dual_mov_b32 v2, s9
	v_dual_mov_b32 v4, s6 :: v_dual_mov_b32 v5, s7
	s_load_b64 s[6:7], s[0:1], 0x18
	flat_load_b64 v[2:3], v[1:2]
	flat_load_b64 v[11:12], v[4:5]
	s_waitcnt vmcnt(1) lgkmcnt(0)
	v_add_co_u32 v2, vcc_lo, v2, s6
	v_add_co_ci_u32_e32 v3, vcc_lo, s7, v3, vcc_lo
.LBB34_2:
	s_clause 0x1
	s_load_b32 s3, s[0:1], 0x54
	s_load_b32 s11, s[0:1], 0x48
	s_waitcnt lgkmcnt(0)
	s_and_b32 s10, s3, 0xffff
	s_add_u32 s6, s4, -1
	s_mul_i32 s8, s11, s10
	s_addc_u32 s3, s5, -1
	s_lshl_b32 s9, s8, 2
	s_cmp_lg_u64 s[2:3], 0
	s_cbranch_scc0 .LBB34_27
; %bb.3:
	v_cvt_f32_ubyte0_e32 v1, 0
	v_cvt_f32_u32_e32 v4, s9
	s_sub_u32 s12, 0, s9
	s_subb_u32 s13, 0, 0
	s_delay_alu instid0(VALU_DEP_1) | instskip(NEXT) | instid1(VALU_DEP_1)
	v_fmamk_f32 v1, v1, 0x4f800000, v4
	v_rcp_f32_e32 v1, v1
	s_waitcnt_depctr 0xfff
	v_mul_f32_e32 v1, 0x5f7ffffc, v1
	s_delay_alu instid0(VALU_DEP_1) | instskip(NEXT) | instid1(VALU_DEP_1)
	v_mul_f32_e32 v4, 0x2f800000, v1
	v_trunc_f32_e32 v4, v4
	s_delay_alu instid0(VALU_DEP_1) | instskip(SKIP_1) | instid1(VALU_DEP_2)
	v_fmamk_f32 v1, v4, 0xcf800000, v1
	v_cvt_u32_f32_e32 v4, v4
	v_cvt_u32_f32_e32 v1, v1
	s_delay_alu instid0(VALU_DEP_2) | instskip(NEXT) | instid1(VALU_DEP_2)
	v_readfirstlane_b32 s2, v4
	v_readfirstlane_b32 s7, v1
	s_delay_alu instid0(VALU_DEP_2) | instskip(NEXT) | instid1(VALU_DEP_1)
	s_mul_i32 s14, s12, s2
	s_mul_hi_u32 s17, s12, s7
	s_mul_i32 s16, s13, s7
	s_add_i32 s14, s17, s14
	s_mul_i32 s18, s12, s7
	s_add_i32 s14, s14, s16
	s_mul_hi_u32 s17, s7, s18
	s_mul_hi_u32 s19, s2, s18
	s_mul_i32 s16, s2, s18
	s_mul_hi_u32 s18, s7, s14
	s_mul_i32 s7, s7, s14
	s_mul_hi_u32 s20, s2, s14
	s_add_u32 s7, s17, s7
	s_addc_u32 s17, 0, s18
	s_add_u32 s7, s7, s16
	s_mul_i32 s14, s2, s14
	s_addc_u32 s7, s17, s19
	s_addc_u32 s16, s20, 0
	s_add_u32 s7, s7, s14
	s_addc_u32 s14, 0, s16
	v_add_co_u32 v1, s7, v1, s7
	s_delay_alu instid0(VALU_DEP_1) | instskip(SKIP_1) | instid1(VALU_DEP_1)
	s_cmp_lg_u32 s7, 0
	s_addc_u32 s2, s2, s14
	v_readfirstlane_b32 s7, v1
	s_mul_i32 s14, s12, s2
	s_delay_alu instid0(VALU_DEP_1)
	s_mul_hi_u32 s16, s12, s7
	s_mul_i32 s13, s13, s7
	s_add_i32 s14, s16, s14
	s_mul_i32 s12, s12, s7
	s_add_i32 s14, s14, s13
	s_mul_hi_u32 s16, s2, s12
	s_mul_i32 s17, s2, s12
	s_mul_hi_u32 s12, s7, s12
	s_mul_hi_u32 s18, s7, s14
	s_mul_i32 s7, s7, s14
	s_mul_hi_u32 s13, s2, s14
	s_add_u32 s7, s12, s7
	s_addc_u32 s12, 0, s18
	s_add_u32 s7, s7, s17
	s_mul_i32 s14, s2, s14
	s_addc_u32 s7, s12, s16
	s_addc_u32 s12, s13, 0
	s_add_u32 s7, s7, s14
	s_addc_u32 s12, 0, s12
	v_add_co_u32 v1, s7, v1, s7
	s_delay_alu instid0(VALU_DEP_1) | instskip(SKIP_2) | instid1(VALU_DEP_1)
	s_cmp_lg_u32 s7, 0
	s_addc_u32 s7, s2, s12
	s_ashr_i32 s12, s3, 31
	v_readfirstlane_b32 s14, v1
	s_add_u32 s2, s6, s12
	s_mov_b32 s13, s12
	s_addc_u32 s3, s3, s12
	s_delay_alu instid0(SALU_CYCLE_1) | instskip(NEXT) | instid1(SALU_CYCLE_1)
	s_xor_b64 s[2:3], s[2:3], s[12:13]
	s_mul_i32 s17, s2, s7
	s_mul_hi_u32 s18, s2, s14
	s_mul_hi_u32 s16, s2, s7
	;; [unrolled: 1-line block ×3, first 2 shown]
	s_mul_i32 s14, s3, s14
	s_add_u32 s17, s18, s17
	s_addc_u32 s16, 0, s16
	s_mul_hi_u32 s19, s3, s7
	s_add_u32 s14, s17, s14
	s_mul_i32 s7, s3, s7
	s_addc_u32 s14, s16, s20
	s_addc_u32 s16, s19, 0
	s_add_u32 s7, s14, s7
	s_addc_u32 s14, 0, s16
	s_mul_i32 s17, s9, s7
	s_add_u32 s16, s7, 1
	v_sub_co_u32 v1, s2, s2, s17
	s_mul_hi_u32 s17, s9, s7
	s_addc_u32 s18, s14, 0
	s_mul_i32 s19, s9, s14
	s_delay_alu instid0(VALU_DEP_1)
	v_sub_co_u32 v4, s20, v1, s9
	s_add_u32 s21, s7, 2
	s_addc_u32 s22, s14, 0
	s_add_i32 s17, s17, s19
	s_cmp_lg_u32 s2, 0
	v_readfirstlane_b32 s2, v4
	s_subb_u32 s3, s3, s17
	s_cmp_lg_u32 s20, 0
	s_subb_u32 s17, s3, 0
	s_delay_alu instid0(VALU_DEP_1) | instskip(SKIP_4) | instid1(SALU_CYCLE_1)
	s_cmp_ge_u32 s2, s9
	s_cselect_b32 s2, -1, 0
	s_cmp_eq_u32 s17, 0
	v_readfirstlane_b32 s17, v1
	s_cselect_b32 s2, s2, -1
	s_cmp_lg_u32 s2, 0
	s_cselect_b32 s2, s21, s16
	s_cselect_b32 s16, s22, s18
	s_cmp_ge_u32 s17, s9
	s_cselect_b32 s17, -1, 0
	s_cmp_eq_u32 s3, 0
	s_cselect_b32 s3, s17, -1
	s_delay_alu instid0(SALU_CYCLE_1) | instskip(SKIP_2) | instid1(SALU_CYCLE_1)
	s_cmp_lg_u32 s3, 0
	s_cselect_b32 s3, s16, s14
	s_cselect_b32 s2, s2, s7
	s_xor_b64 s[2:3], s[2:3], s[12:13]
	s_delay_alu instid0(SALU_CYCLE_1)
	s_sub_u32 s2, s2, s12
	s_subb_u32 s3, s3, s12
	s_cbranch_execnz .LBB34_5
.LBB34_4:
	v_cvt_f32_u32_e32 v1, s9
	s_sub_i32 s3, 0, s9
	s_delay_alu instid0(VALU_DEP_1) | instskip(SKIP_2) | instid1(VALU_DEP_1)
	v_rcp_iflag_f32_e32 v1, v1
	s_waitcnt_depctr 0xfff
	v_mul_f32_e32 v1, 0x4f7ffffe, v1
	v_cvt_u32_f32_e32 v1, v1
	s_delay_alu instid0(VALU_DEP_1) | instskip(NEXT) | instid1(VALU_DEP_1)
	v_readfirstlane_b32 s2, v1
	s_mul_i32 s3, s3, s2
	s_delay_alu instid0(SALU_CYCLE_1) | instskip(NEXT) | instid1(SALU_CYCLE_1)
	s_mul_hi_u32 s3, s2, s3
	s_add_i32 s2, s2, s3
	s_delay_alu instid0(SALU_CYCLE_1) | instskip(NEXT) | instid1(SALU_CYCLE_1)
	s_mul_hi_u32 s2, s6, s2
	s_mul_i32 s3, s2, s9
	s_delay_alu instid0(SALU_CYCLE_1)
	s_sub_i32 s3, s6, s3
	s_add_i32 s6, s2, 1
	s_sub_i32 s7, s3, s9
	s_cmp_ge_u32 s3, s9
	s_cselect_b32 s2, s6, s2
	s_cselect_b32 s3, s7, s3
	s_add_i32 s6, s2, 1
	s_cmp_ge_u32 s3, s9
	s_mov_b32 s3, 0
	s_cselect_b32 s2, s6, s2
.LBB34_5:
	v_mov_b32_e32 v1, 0
	s_add_u32 s2, s2, 1
	s_addc_u32 s3, s3, 0
	s_mul_hi_u32 s6, s8, s2
	s_mul_i32 s3, s8, s3
	v_mad_u64_u32 v[13:14], null, s10, s15, v[0:1]
	s_mul_hi_u32 s7, s11, s10
	s_add_i32 s3, s6, s3
	s_mul_i32 s7, s7, s2
	s_mul_i32 s2, s8, s2
	s_add_i32 s3, s3, s7
	s_mov_b32 s6, exec_lo
	s_lshl_b64 s[2:3], s[2:3], 2
	s_delay_alu instid0(SALU_CYCLE_1)
	v_cmpx_gt_i64_e64 s[2:3], v[13:14]
	s_cbranch_execz .LBB34_26
; %bb.6:
	s_load_b64 s[6:7], s[0:1], 0x40
	v_alignbit_b32 v24, v3, v2, 2
	v_lshrrev_b32_e32 v25, 2, v3
	s_mov_b32 s13, 0x3e9b6dac
	s_waitcnt vmcnt(0)
	v_add_co_u32 v23, null, 0x9e3779b9, v11
	v_add_co_u32 v22, null, 0xdaa66d2b, v11
	;; [unrolled: 1-line block ×4, first 2 shown]
	s_mul_i32 s14, s11, 3
	v_add_co_u32 v28, null, 0xb54cda56, v11
	s_add_i32 s14, s15, s14
	v_add_co_u32 v20, null, 0x5384540f, v11
	s_lshl_b32 s16, s11, 1
	v_add_nc_u32_e32 v18, 0x8ff34781, v11
	s_waitcnt lgkmcnt(0)
	v_cvt_f32_f64_e32 v43, s[6:7]
	s_clause 0x1
	s_load_b64 s[6:7], s[0:1], 0x30
	s_load_b32 s12, s[0:1], 0x38
	s_mov_b32 s0, 0
	s_lshl_b32 s1, s8, 1
	v_add_nc_u32_e32 v19, 0x96a522ad, v12
	s_delay_alu instid0(VALU_DEP_2) | instskip(NEXT) | instid1(VALU_DEP_1)
	v_sub_f32_e32 v1, 1.0, v43
	v_cvt_f64_f32_e32 v[4:5], v1
	s_delay_alu instid0(VALU_DEP_1) | instskip(SKIP_1) | instid1(VALU_DEP_1)
	v_frexp_exp_i32_f64_e32 v4, v[4:5]
	v_frexp_mant_f32_e32 v5, v1
	v_cmp_gt_f32_e32 vcc_lo, 0x3f2aaaab, v5
	s_delay_alu instid0(VALU_DEP_3) | instskip(SKIP_2) | instid1(VALU_DEP_3)
	v_subrev_co_ci_u32_e32 v10, vcc_lo, 0, v4, vcc_lo
	v_add_f32_e32 v4, -1.0, v1
	v_cmp_eq_f32_e32 vcc_lo, 0xff800000, v43
	v_sub_nc_u32_e32 v5, 0, v10
	v_cvt_f32_i32_e32 v10, v10
	s_delay_alu instid0(VALU_DEP_4) | instskip(SKIP_1) | instid1(VALU_DEP_3)
	v_sub_f32_e32 v6, v4, v1
	v_sub_f32_e64 v4, -v43, v4
	v_mul_f32_e32 v37, 0x3f317218, v10
	s_delay_alu instid0(VALU_DEP_3) | instskip(SKIP_1) | instid1(VALU_DEP_1)
	v_add_f32_e32 v6, 1.0, v6
	v_ldexp_f32 v1, v1, v5
	v_dual_add_f32 v4, v4, v6 :: v_dual_add_f32 v7, 1.0, v1
	s_delay_alu instid0(VALU_DEP_1) | instskip(NEXT) | instid1(VALU_DEP_2)
	v_ldexp_f32 v4, v4, v5
	v_dual_add_f32 v6, -1.0, v7 :: v_dual_add_f32 v5, -1.0, v1
	s_delay_alu instid0(VALU_DEP_1) | instskip(NEXT) | instid1(VALU_DEP_2)
	v_sub_f32_e32 v6, v1, v6
	v_add_f32_e32 v8, 1.0, v5
	s_delay_alu instid0(VALU_DEP_1) | instskip(NEXT) | instid1(VALU_DEP_1)
	v_sub_f32_e32 v1, v1, v8
	v_add_f32_e32 v1, v4, v1
	s_delay_alu instid0(VALU_DEP_4) | instskip(NEXT) | instid1(VALU_DEP_2)
	v_add_f32_e32 v6, v4, v6
	v_add_f32_e32 v4, v5, v1
	s_delay_alu instid0(VALU_DEP_1) | instskip(NEXT) | instid1(VALU_DEP_1)
	v_sub_f32_e32 v5, v4, v5
	v_dual_sub_f32 v1, v1, v5 :: v_dual_add_f32 v8, v7, v6
	s_delay_alu instid0(VALU_DEP_1) | instskip(SKIP_3) | instid1(VALU_DEP_2)
	v_rcp_f32_e32 v9, v8
	s_waitcnt_depctr 0xfff
	v_mul_f32_e32 v15, v4, v9
	v_sub_f32_e32 v7, v8, v7
	v_mul_f32_e32 v16, v8, v15
	s_delay_alu instid0(VALU_DEP_2) | instskip(NEXT) | instid1(VALU_DEP_2)
	v_sub_f32_e32 v6, v6, v7
	v_fma_f32 v7, v15, v8, -v16
	s_delay_alu instid0(VALU_DEP_1) | instskip(NEXT) | instid1(VALU_DEP_1)
	v_fmac_f32_e32 v7, v15, v6
	v_add_f32_e32 v17, v16, v7
	s_delay_alu instid0(VALU_DEP_1) | instskip(NEXT) | instid1(VALU_DEP_1)
	v_sub_f32_e32 v26, v4, v17
	v_sub_f32_e32 v4, v4, v26
	s_delay_alu instid0(VALU_DEP_1) | instskip(NEXT) | instid1(VALU_DEP_1)
	v_sub_f32_e32 v4, v4, v17
	v_add_f32_e32 v1, v1, v4
	v_sub_f32_e32 v5, v17, v16
	v_and_b32_e32 v17, 3, v2
	s_delay_alu instid0(VALU_DEP_2) | instskip(NEXT) | instid1(VALU_DEP_1)
	v_sub_f32_e32 v5, v5, v7
	v_add_f32_e32 v4, v5, v1
	v_mad_u64_u32 v[1:2], null, 0xcd9e8d57, v13, 0
	s_delay_alu instid0(VALU_DEP_2) | instskip(NEXT) | instid1(VALU_DEP_2)
	v_add_f32_e32 v5, v26, v4
	v_xor3_b32 v2, v11, v2, v25
	s_delay_alu instid0(VALU_DEP_2) | instskip(NEXT) | instid1(VALU_DEP_1)
	v_mul_f32_e32 v7, v9, v5
	v_mul_f32_e32 v16, v8, v7
	v_dual_mov_b32 v38, v12 :: v_dual_sub_f32 v3, v26, v5
	v_add_co_u32 v26, null, 0x3c6ef372, v11
	s_delay_alu instid0(VALU_DEP_3) | instskip(NEXT) | instid1(VALU_DEP_3)
	v_fma_f32 v8, v7, v8, -v16
	v_add_co_u32 v31, null, 0x76cf5d0a, v38
	s_delay_alu instid0(VALU_DEP_4) | instskip(SKIP_1) | instid1(VALU_DEP_4)
	v_add_f32_e32 v29, v4, v3
	v_mad_u64_u32 v[3:4], null, 0xd2511f53, v24, 0
	v_fmac_f32_e32 v8, v7, v6
	v_add_co_u32 v32, null, 0x32370b8f, v38
	v_add_co_u32 v35, null, 0xa9066899, v38
	s_delay_alu instid0(VALU_DEP_3) | instskip(NEXT) | instid1(VALU_DEP_1)
	v_add_f32_e32 v6, v16, v8
	v_sub_f32_e32 v30, v5, v6
	s_delay_alu instid0(VALU_DEP_1) | instskip(NEXT) | instid1(VALU_DEP_1)
	v_dual_sub_f32 v5, v5, v30 :: v_dual_sub_f32 v16, v6, v16
	v_dual_sub_f32 v5, v5, v6 :: v_dual_sub_f32 v6, v16, v8
	v_add_f32_e32 v16, v15, v7
	v_xor_b32_e32 v8, v4, v12
	s_delay_alu instid0(VALU_DEP_3) | instskip(SKIP_1) | instid1(VALU_DEP_3)
	v_add_f32_e32 v5, v29, v5
	v_add_co_u32 v29, null, 0xf1bbcdc8, v11
	v_xor_b32_e32 v8, v8, v14
	s_delay_alu instid0(VALU_DEP_3) | instskip(SKIP_2) | instid1(VALU_DEP_1)
	v_add_f32_e32 v6, v6, v5
	v_mad_u64_u32 v[4:5], null, 0xd2511f53, v2, 0
	v_sub_f32_e32 v2, v16, v15
	v_sub_f32_e32 v7, v7, v2
	s_delay_alu instid0(VALU_DEP_4) | instskip(SKIP_1) | instid1(VALU_DEP_2)
	v_add_f32_e32 v6, v30, v6
	v_add_co_u32 v30, null, 0xbb67ae85, v38
	v_mul_f32_e32 v6, v9, v6
	s_delay_alu instid0(VALU_DEP_2) | instskip(SKIP_1) | instid1(VALU_DEP_3)
	v_xor3_b32 v9, v30, v5, v3
	v_mad_u64_u32 v[2:3], null, 0xcd9e8d57, v8, 0
	v_add_f32_e32 v15, v7, v6
	s_delay_alu instid0(VALU_DEP_3) | instskip(SKIP_1) | instid1(VALU_DEP_3)
	v_mad_u64_u32 v[5:6], null, 0xcd9e8d57, v9, 0
	v_mad_u64_u32 v[7:8], null, s15, s10, v[0:1]
	v_add_f32_e32 v33, v16, v15
	v_xor3_b32 v3, v23, v3, v1
	s_delay_alu instid0(VALU_DEP_4) | instskip(NEXT) | instid1(VALU_DEP_3)
	v_xor3_b32 v6, v26, v6, v2
	v_mul_f32_e32 v34, v33, v33
	s_delay_alu instid0(VALU_DEP_3) | instskip(NEXT) | instid1(VALU_DEP_3)
	v_mad_u64_u32 v[1:2], null, 0xd2511f53, v3, 0
	v_mad_u64_u32 v[8:9], null, 0xd2511f53, v6, 0
	s_delay_alu instid0(VALU_DEP_3)
	v_fmaak_f32 v3, s13, v34, 0x3ecc95a3
	v_mul_f32_e32 v6, v33, v34
	v_sub_f32_e32 v16, v33, v16
	v_xor3_b32 v4, v31, v2, v4
	s_add_i32 s13, s15, s11
	v_fmaak_f32 v3, v34, v3, 0x3f2aaada
	v_ldexp_f32 v34, v33, 1
	v_xor3_b32 v9, v32, v9, v1
	v_mad_u64_u32 v[1:2], null, 0xcd9e8d57, v4, 0
	s_delay_alu instid0(VALU_DEP_4) | instskip(NEXT) | instid1(VALU_DEP_3)
	v_dual_mul_f32 v6, v6, v3 :: v_dual_mov_b32 v33, v13
	v_mad_u64_u32 v[3:4], null, 0xcd9e8d57, v9, 0
	s_delay_alu instid0(VALU_DEP_2) | instskip(SKIP_3) | instid1(VALU_DEP_3)
	v_dual_sub_f32 v9, v15, v16 :: v_dual_add_f32 v36, v34, v6
	v_fma_f32 v16, 0x3f317218, v10, -v37
	v_xor3_b32 v5, v22, v2, v5
	s_add_i32 s15, s15, s16
	v_ldexp_f32 v9, v9, 1
	s_delay_alu instid0(VALU_DEP_3) | instskip(SKIP_3) | instid1(VALU_DEP_2)
	v_dual_sub_f32 v15, v36, v34 :: v_dual_fmamk_f32 v16, v10, 0xb102e308, v16
	v_add_co_u32 v34, null, 0xed9eba14, v38
	s_waitcnt lgkmcnt(0)
	s_mul_i32 s11, s11, s12
	v_dual_sub_f32 v6, v6, v15 :: v_dual_add_f32 v39, v37, v16
	v_xor3_b32 v15, v27, v4, v1
	v_mad_u64_u32 v[1:2], null, 0xd2511f53, v5, 0
	s_delay_alu instid0(VALU_DEP_3) | instskip(NEXT) | instid1(VALU_DEP_3)
	v_dual_add_f32 v6, v9, v6 :: v_dual_sub_f32 v37, v39, v37
	v_mad_u64_u32 v[4:5], null, 0xd2511f53, v15, 0
	s_mul_i32 s11, s11, s10
	s_delay_alu instid0(VALU_DEP_2) | instskip(NEXT) | instid1(VALU_DEP_4)
	v_add_f32_e32 v40, v36, v6
	v_xor3_b32 v2, v34, v2, v8
	v_mad_u64_u32 v[8:9], null, s13, s10, v[0:1]
	s_lshl_b32 s11, s11, 2
	s_delay_alu instid0(VALU_DEP_3) | instskip(SKIP_2) | instid1(VALU_DEP_3)
	v_add_f32_e32 v41, v39, v40
	v_xor3_b32 v5, v35, v5, v1
	v_mad_u64_u32 v[9:10], null, 0xcd9e8d57, v2, 0
	v_sub_f32_e32 v15, v41, v39
	s_delay_alu instid0(VALU_DEP_3) | instskip(NEXT) | instid1(VALU_DEP_2)
	v_mad_u64_u32 v[1:2], null, 0xcd9e8d57, v5, 0
	v_dual_sub_f32 v42, v16, v37 :: v_dual_sub_f32 v5, v41, v15
	s_delay_alu instid0(VALU_DEP_4) | instskip(SKIP_1) | instid1(VALU_DEP_4)
	v_xor3_b32 v3, v21, v10, v3
	v_sub_f32_e32 v10, v40, v15
	v_xor3_b32 v9, v28, v2, v9
	s_delay_alu instid0(VALU_DEP_4) | instskip(NEXT) | instid1(VALU_DEP_1)
	v_dual_sub_f32 v15, v39, v5 :: v_dual_sub_f32 v36, v40, v36
	v_sub_f32_e32 v44, v6, v36
	v_mad_u64_u32 v[5:6], null, 0xd2511f53, v3, 0
	v_add_co_u32 v36, null, 0x646e171e, v38
	s_delay_alu instid0(VALU_DEP_3) | instskip(SKIP_2) | instid1(VALU_DEP_4)
	v_add_f32_e32 v37, v42, v44
	v_add_f32_e32 v3, v10, v15
	v_mad_u64_u32 v[15:16], null, s14, s10, v[0:1]
	v_xor3_b32 v4, v36, v6, v4
	s_delay_alu instid0(VALU_DEP_3) | instskip(SKIP_1) | instid1(VALU_DEP_3)
	v_add_f32_e32 v16, v37, v3
	v_mad_u64_u32 v[2:3], null, 0xd2511f53, v9, 0
	v_mad_u64_u32 v[9:10], null, 0xcd9e8d57, v4, 0
	s_delay_alu instid0(VALU_DEP_3) | instskip(NEXT) | instid1(VALU_DEP_1)
	v_add_f32_e32 v40, v41, v16
	v_dual_sub_f32 v6, v37, v42 :: v_dual_sub_f32 v39, v40, v41
	s_delay_alu instid0(VALU_DEP_1) | instskip(SKIP_2) | instid1(VALU_DEP_4)
	v_sub_f32_e32 v4, v37, v6
	v_add_co_u32 v37, null, 0x1fd5c5a3, v38
	v_sub_f32_e32 v6, v44, v6
	v_sub_f32_e32 v16, v16, v39
	s_delay_alu instid0(VALU_DEP_4) | instskip(NEXT) | instid1(VALU_DEP_4)
	v_sub_f32_e32 v4, v42, v4
	v_xor3_b32 v3, v37, v3, v5
	v_xor3_b32 v10, v20, v10, v1
	v_mad_u64_u32 v[41:42], null, s15, s10, v[0:1]
	s_delay_alu instid0(VALU_DEP_4) | instskip(NEXT) | instid1(VALU_DEP_4)
	v_add_f32_e32 v6, v6, v4
	v_mad_u64_u32 v[0:1], null, 0xcd9e8d57, v3, 0
	s_delay_alu instid0(VALU_DEP_4) | instskip(NEXT) | instid1(VALU_DEP_3)
	v_mad_u64_u32 v[4:5], null, 0xd2511f53, v10, 0
	v_add_f32_e32 v3, v6, v16
	v_add_co_u32 v38, null, 0xdb3d7428, v38
	v_mul_lo_u32 v39, s12, v7
	v_xor3_b32 v1, v29, v1, v9
	s_delay_alu instid0(VALU_DEP_4) | instskip(NEXT) | instid1(VALU_DEP_4)
	v_add_f32_e32 v3, v40, v3
	v_xor3_b32 v7, v38, v5, v2
	v_cmp_gt_f32_e64 s10, 0x33800000, |v43|
	v_mul_lo_u32 v40, s12, v15
	v_mad_u64_u32 v[5:6], null, 0xd2511f53, v1, 0
	v_cndmask_b32_e64 v3, v3, -v43, vcc_lo
	v_cmp_nlt_f32_e32 vcc_lo, 1.0, v43
	v_mad_u64_u32 v[1:2], null, 0xcd9e8d57, v7, 0
	v_mul_lo_u32 v41, s12, v41
	v_mul_lo_u32 v42, s12, v8
	v_cndmask_b32_e32 v3, 0x7fc00000, v3, vcc_lo
	v_cmp_neq_f32_e32 vcc_lo, 1.0, v43
	v_mov_b32_e32 v44, v14
	s_mov_b32 s12, 0
	v_xor3_b32 v0, v2, v0, v18
	v_xor3_b32 v2, v6, v4, v19
	v_cndmask_b32_e32 v7, 0xff800000, v3, vcc_lo
	v_mov_b32_e32 v3, v5
	s_delay_alu instid0(VALU_DEP_2)
	v_cndmask_b32_e64 v43, v7, -v43, s10
	s_mul_i32 s10, s8, 3
	s_branch .LBB34_8
.LBB34_7:                               ;   in Loop: Header=BB34_8 Depth=1
	s_or_b32 exec_lo, exec_lo, s13
	v_add_co_u32 v13, vcc_lo, v13, s9
	v_add_co_ci_u32_e32 v14, vcc_lo, 0, v14, vcc_lo
	v_mov_b32_e32 v7, v15
	v_dual_mov_b32 v0, v4 :: v_dual_mov_b32 v1, v5
	s_delay_alu instid0(VALU_DEP_3) | instskip(NEXT) | instid1(VALU_DEP_3)
	v_cmp_le_i64_e32 vcc_lo, s[2:3], v[13:14]
	v_dual_mov_b32 v2, v6 :: v_dual_mov_b32 v3, v7
	s_add_i32 s12, s12, s11
	s_waitcnt_vscnt null, 0x0
	s_barrier
	s_or_b32 s0, vcc_lo, s0
	buffer_gl0_inv
	s_and_not1_b32 exec_lo, exec_lo, s0
	s_cbranch_execz .LBB34_26
.LBB34_8:                               ; =>This Inner Loop Header: Depth=1
	v_add_co_u32 v24, vcc_lo, v24, 1
	s_delay_alu instid0(VALU_DEP_1) | instskip(SKIP_2) | instid1(VALU_DEP_1)
	v_cndmask_b32_e64 v4, 0, 1, vcc_lo
	v_add_co_ci_u32_e32 v25, vcc_lo, 0, v25, vcc_lo
	s_mov_b32 s13, exec_lo
	v_cmp_eq_u32_e32 vcc_lo, 0, v25
	s_delay_alu instid0(VALU_DEP_3) | instskip(NEXT) | instid1(VALU_DEP_1)
	v_cndmask_b32_e32 v4, 0, v4, vcc_lo
	v_add_nc_u32_e32 v33, v4, v33
	s_delay_alu instid0(VALU_DEP_1) | instskip(SKIP_2) | instid1(VALU_DEP_2)
	v_cmp_eq_u32_e32 vcc_lo, 0, v33
	v_cndmask_b32_e32 v4, 0, v4, vcc_lo
	v_mad_u64_u32 v[6:7], null, 0xcd9e8d57, v33, 0
	v_add_nc_u32_e32 v44, v4, v44
	v_mad_u64_u32 v[4:5], null, 0xd2511f53, v24, 0
	s_delay_alu instid0(VALU_DEP_3) | instskip(NEXT) | instid1(VALU_DEP_2)
	v_xor3_b32 v9, v7, v11, v25
	v_xor_b32_e32 v5, v5, v12
	s_delay_alu instid0(VALU_DEP_2) | instskip(NEXT) | instid1(VALU_DEP_2)
	v_mad_u64_u32 v[7:8], null, 0xd2511f53, v9, 0
	v_xor_b32_e32 v5, v44, v5
	s_delay_alu instid0(VALU_DEP_2) | instskip(NEXT) | instid1(VALU_DEP_2)
	v_xor3_b32 v8, v30, v8, v4
	v_mad_u64_u32 v[9:10], null, 0xcd9e8d57, v5, 0
	s_delay_alu instid0(VALU_DEP_2) | instskip(NEXT) | instid1(VALU_DEP_2)
	v_mad_u64_u32 v[4:5], null, 0xcd9e8d57, v8, 0
	v_xor3_b32 v6, v23, v10, v6
	s_delay_alu instid0(VALU_DEP_2) | instskip(NEXT) | instid1(VALU_DEP_2)
	v_xor3_b32 v8, v26, v5, v9
	v_mad_u64_u32 v[15:16], null, 0xd2511f53, v6, 0
	s_delay_alu instid0(VALU_DEP_2) | instskip(NEXT) | instid1(VALU_DEP_2)
	v_mad_u64_u32 v[5:6], null, 0xd2511f53, v8, 0
	v_xor3_b32 v9, v31, v16, v7
	s_delay_alu instid0(VALU_DEP_2) | instskip(NEXT) | instid1(VALU_DEP_2)
	v_xor3_b32 v6, v32, v6, v15
	v_mad_u64_u32 v[7:8], null, 0xcd9e8d57, v9, 0
	s_delay_alu instid0(VALU_DEP_1) | instskip(NEXT) | instid1(VALU_DEP_3)
	v_xor3_b32 v4, v22, v8, v4
	v_mad_u64_u32 v[8:9], null, 0xcd9e8d57, v6, 0
	s_delay_alu instid0(VALU_DEP_2) | instskip(NEXT) | instid1(VALU_DEP_2)
	v_mad_u64_u32 v[15:16], null, 0xd2511f53, v4, 0
	v_xor3_b32 v6, v27, v9, v7
	s_delay_alu instid0(VALU_DEP_2) | instskip(NEXT) | instid1(VALU_DEP_2)
	v_xor3_b32 v9, v34, v16, v5
	v_mad_u64_u32 v[4:5], null, 0xd2511f53, v6, 0
	s_delay_alu instid0(VALU_DEP_2) | instskip(NEXT) | instid1(VALU_DEP_2)
	v_mad_u64_u32 v[6:7], null, 0xcd9e8d57, v9, 0
	v_xor3_b32 v5, v35, v5, v15
	s_delay_alu instid0(VALU_DEP_2) | instskip(NEXT) | instid1(VALU_DEP_2)
	;; [unrolled: 6-line block ×6, first 2 shown]
	v_xor3_b32 v4, v6, v7, v18
	v_mov_b32_e32 v6, v10
	v_cmpx_lt_i32_e32 1, v17
	s_xor_b32 s13, exec_lo, s13
	s_cbranch_execnz .LBB34_18
; %bb.9:                                ;   in Loop: Header=BB34_8 Depth=1
	s_and_not1_saveexec_b32 s13, s13
	s_cbranch_execnz .LBB34_23
.LBB34_10:                              ;   in Loop: Header=BB34_8 Depth=1
	s_or_b32 exec_lo, exec_lo, s13
	s_delay_alu instid0(SALU_CYCLE_1)
	s_mov_b32 s13, exec_lo
	v_cmpx_gt_i64_e64 s[4:5], v[13:14]
	s_cbranch_execz .LBB34_12
.LBB34_11:                              ;   in Loop: Header=BB34_8 Depth=1
	v_cvt_f32_u32_e32 v0, v0
	s_delay_alu instid0(VALU_DEP_1) | instskip(NEXT) | instid1(VALU_DEP_1)
	v_fmaak_f32 v0, 0x2f800000, v0, 0x2f800000
	v_cmp_gt_f32_e32 vcc_lo, 0x800000, v0
	v_cndmask_b32_e64 v7, 1.0, 0x4f800000, vcc_lo
	s_delay_alu instid0(VALU_DEP_1) | instskip(NEXT) | instid1(VALU_DEP_1)
	v_mul_f32_e32 v0, v0, v7
	v_log_f32_e32 v0, v0
	s_waitcnt_depctr 0xfff
	v_mul_f32_e32 v7, 0x3f317217, v0
	s_delay_alu instid0(VALU_DEP_1) | instskip(NEXT) | instid1(VALU_DEP_1)
	v_fma_f32 v8, 0x3f317217, v0, -v7
	v_fmac_f32_e32 v8, 0x3377d1cf, v0
	s_delay_alu instid0(VALU_DEP_1) | instskip(SKIP_2) | instid1(VALU_DEP_3)
	v_add_f32_e32 v7, v7, v8
	v_cndmask_b32_e64 v8, 0, 0x41b17218, vcc_lo
	v_cmp_gt_f32_e64 vcc_lo, 0x7f800000, |v0|
	v_cndmask_b32_e32 v0, v0, v7, vcc_lo
	s_delay_alu instid0(VALU_DEP_1) | instskip(NEXT) | instid1(VALU_DEP_1)
	v_sub_f32_e32 v0, v0, v8
	v_div_scale_f32 v7, null, v43, v43, v0
	v_div_scale_f32 v10, vcc_lo, v0, v43, v0
	s_delay_alu instid0(VALU_DEP_2) | instskip(SKIP_2) | instid1(VALU_DEP_1)
	v_rcp_f32_e32 v8, v7
	s_waitcnt_depctr 0xfff
	v_fma_f32 v9, -v7, v8, 1.0
	v_fmac_f32_e32 v8, v9, v8
	s_delay_alu instid0(VALU_DEP_1) | instskip(NEXT) | instid1(VALU_DEP_1)
	v_mul_f32_e32 v9, v10, v8
	v_fma_f32 v16, -v7, v9, v10
	s_delay_alu instid0(VALU_DEP_1) | instskip(NEXT) | instid1(VALU_DEP_1)
	v_fmac_f32_e32 v9, v16, v8
	v_fma_f32 v7, -v7, v9, v10
	s_delay_alu instid0(VALU_DEP_1) | instskip(SKIP_1) | instid1(VALU_DEP_2)
	v_div_fmas_f32 v7, v7, v8, v9
	v_add_nc_u32_e32 v8, s12, v39
	v_div_fixup_f32 v0, v7, v43, v0
	s_delay_alu instid0(VALU_DEP_2) | instskip(NEXT) | instid1(VALU_DEP_2)
	v_ashrrev_i32_e32 v9, 31, v8
	v_ceil_f32_e32 v0, v0
	s_delay_alu instid0(VALU_DEP_1) | instskip(NEXT) | instid1(VALU_DEP_1)
	v_bfe_u32 v7, v0, 16, 1
	v_add3_u32 v7, v0, v7, 0x7fff
	s_delay_alu instid0(VALU_DEP_1) | instskip(SKIP_3) | instid1(VALU_DEP_4)
	v_lshrrev_b32_e32 v10, 16, v7
	v_add_co_u32 v7, vcc_lo, s6, v8
	v_add_co_ci_u32_e32 v8, vcc_lo, s7, v9, vcc_lo
	v_cmp_o_f32_e32 vcc_lo, v0, v0
	v_cndmask_b32_e32 v0, 0x7fc0, v10, vcc_lo
	global_store_b16 v[7:8], v0, off
.LBB34_12:                              ;   in Loop: Header=BB34_8 Depth=1
	s_or_b32 exec_lo, exec_lo, s13
	v_add_co_u32 v7, vcc_lo, s8, v13
	v_add_co_ci_u32_e32 v8, vcc_lo, 0, v14, vcc_lo
	s_mov_b32 s13, exec_lo
	s_delay_alu instid0(VALU_DEP_1)
	v_cmpx_gt_i64_e64 s[4:5], v[7:8]
	s_cbranch_execz .LBB34_14
; %bb.13:                               ;   in Loop: Header=BB34_8 Depth=1
	v_cvt_f32_u32_e32 v0, v1
	s_delay_alu instid0(VALU_DEP_1) | instskip(NEXT) | instid1(VALU_DEP_1)
	v_fmaak_f32 v0, 0x2f800000, v0, 0x2f800000
	v_cmp_gt_f32_e32 vcc_lo, 0x800000, v0
	v_cndmask_b32_e64 v1, 1.0, 0x4f800000, vcc_lo
	s_delay_alu instid0(VALU_DEP_1) | instskip(NEXT) | instid1(VALU_DEP_1)
	v_mul_f32_e32 v0, v0, v1
	v_log_f32_e32 v0, v0
	s_waitcnt_depctr 0xfff
	v_mul_f32_e32 v1, 0x3f317217, v0
	s_delay_alu instid0(VALU_DEP_1) | instskip(NEXT) | instid1(VALU_DEP_1)
	v_fma_f32 v7, 0x3f317217, v0, -v1
	v_fmac_f32_e32 v7, 0x3377d1cf, v0
	s_delay_alu instid0(VALU_DEP_1) | instskip(SKIP_2) | instid1(VALU_DEP_3)
	v_add_f32_e32 v1, v1, v7
	v_cndmask_b32_e64 v7, 0, 0x41b17218, vcc_lo
	v_cmp_gt_f32_e64 vcc_lo, 0x7f800000, |v0|
	v_cndmask_b32_e32 v0, v0, v1, vcc_lo
	s_delay_alu instid0(VALU_DEP_1) | instskip(NEXT) | instid1(VALU_DEP_1)
	v_sub_f32_e32 v0, v0, v7
	v_div_scale_f32 v1, null, v43, v43, v0
	v_div_scale_f32 v9, vcc_lo, v0, v43, v0
	s_delay_alu instid0(VALU_DEP_2) | instskip(SKIP_2) | instid1(VALU_DEP_1)
	v_rcp_f32_e32 v7, v1
	s_waitcnt_depctr 0xfff
	v_fma_f32 v8, -v1, v7, 1.0
	v_fmac_f32_e32 v7, v8, v7
	s_delay_alu instid0(VALU_DEP_1) | instskip(NEXT) | instid1(VALU_DEP_1)
	v_mul_f32_e32 v8, v9, v7
	v_fma_f32 v10, -v1, v8, v9
	s_delay_alu instid0(VALU_DEP_1) | instskip(NEXT) | instid1(VALU_DEP_1)
	v_fmac_f32_e32 v8, v10, v7
	v_fma_f32 v1, -v1, v8, v9
	s_delay_alu instid0(VALU_DEP_1) | instskip(NEXT) | instid1(VALU_DEP_1)
	v_div_fmas_f32 v1, v1, v7, v8
	v_div_fixup_f32 v0, v1, v43, v0
	v_add_nc_u32_e32 v1, s12, v42
	s_delay_alu instid0(VALU_DEP_2) | instskip(NEXT) | instid1(VALU_DEP_2)
	v_ceil_f32_e32 v7, v0
	v_ashrrev_i32_e32 v8, 31, v1
	s_delay_alu instid0(VALU_DEP_2) | instskip(NEXT) | instid1(VALU_DEP_1)
	v_bfe_u32 v0, v7, 16, 1
	v_add3_u32 v0, v7, v0, 0x7fff
	s_delay_alu instid0(VALU_DEP_1) | instskip(SKIP_3) | instid1(VALU_DEP_4)
	v_lshrrev_b32_e32 v9, 16, v0
	v_add_co_u32 v0, vcc_lo, s6, v1
	v_add_co_ci_u32_e32 v1, vcc_lo, s7, v8, vcc_lo
	v_cmp_o_f32_e32 vcc_lo, v7, v7
	v_cndmask_b32_e32 v7, 0x7fc0, v9, vcc_lo
	global_store_b16 v[0:1], v7, off
.LBB34_14:                              ;   in Loop: Header=BB34_8 Depth=1
	s_or_b32 exec_lo, exec_lo, s13
	v_add_co_u32 v0, vcc_lo, s1, v13
	v_add_co_ci_u32_e32 v1, vcc_lo, 0, v14, vcc_lo
	s_mov_b32 s13, exec_lo
	s_delay_alu instid0(VALU_DEP_1)
	v_cmpx_gt_i64_e64 s[4:5], v[0:1]
	s_cbranch_execz .LBB34_16
; %bb.15:                               ;   in Loop: Header=BB34_8 Depth=1
	v_cvt_f32_u32_e32 v0, v2
	s_delay_alu instid0(VALU_DEP_1) | instskip(NEXT) | instid1(VALU_DEP_1)
	v_fmaak_f32 v0, 0x2f800000, v0, 0x2f800000
	v_cmp_gt_f32_e32 vcc_lo, 0x800000, v0
	v_cndmask_b32_e64 v1, 1.0, 0x4f800000, vcc_lo
	s_delay_alu instid0(VALU_DEP_1) | instskip(NEXT) | instid1(VALU_DEP_1)
	v_mul_f32_e32 v0, v0, v1
	v_log_f32_e32 v0, v0
	s_waitcnt_depctr 0xfff
	v_mul_f32_e32 v1, 0x3f317217, v0
	s_delay_alu instid0(VALU_DEP_1) | instskip(NEXT) | instid1(VALU_DEP_1)
	v_fma_f32 v2, 0x3f317217, v0, -v1
	v_fmac_f32_e32 v2, 0x3377d1cf, v0
	s_delay_alu instid0(VALU_DEP_1) | instskip(SKIP_2) | instid1(VALU_DEP_3)
	v_add_f32_e32 v1, v1, v2
	v_cndmask_b32_e64 v2, 0, 0x41b17218, vcc_lo
	v_cmp_gt_f32_e64 vcc_lo, 0x7f800000, |v0|
	v_cndmask_b32_e32 v0, v0, v1, vcc_lo
	s_delay_alu instid0(VALU_DEP_1) | instskip(NEXT) | instid1(VALU_DEP_1)
	v_sub_f32_e32 v0, v0, v2
	v_div_scale_f32 v1, null, v43, v43, v0
	v_div_scale_f32 v8, vcc_lo, v0, v43, v0
	s_delay_alu instid0(VALU_DEP_2) | instskip(SKIP_2) | instid1(VALU_DEP_1)
	v_rcp_f32_e32 v2, v1
	s_waitcnt_depctr 0xfff
	v_fma_f32 v7, -v1, v2, 1.0
	v_fmac_f32_e32 v2, v7, v2
	s_delay_alu instid0(VALU_DEP_1) | instskip(NEXT) | instid1(VALU_DEP_1)
	v_mul_f32_e32 v7, v8, v2
	v_fma_f32 v9, -v1, v7, v8
	s_delay_alu instid0(VALU_DEP_1) | instskip(NEXT) | instid1(VALU_DEP_1)
	v_fmac_f32_e32 v7, v9, v2
	v_fma_f32 v1, -v1, v7, v8
	s_delay_alu instid0(VALU_DEP_1) | instskip(NEXT) | instid1(VALU_DEP_1)
	v_div_fmas_f32 v1, v1, v2, v7
	v_div_fixup_f32 v0, v1, v43, v0
	v_add_nc_u32_e32 v1, s12, v41
	s_delay_alu instid0(VALU_DEP_2) | instskip(NEXT) | instid1(VALU_DEP_2)
	v_ceil_f32_e32 v2, v0
	v_ashrrev_i32_e32 v7, 31, v1
	s_delay_alu instid0(VALU_DEP_2) | instskip(NEXT) | instid1(VALU_DEP_1)
	v_bfe_u32 v0, v2, 16, 1
	v_add3_u32 v0, v2, v0, 0x7fff
	s_delay_alu instid0(VALU_DEP_1) | instskip(SKIP_3) | instid1(VALU_DEP_4)
	v_lshrrev_b32_e32 v8, 16, v0
	v_add_co_u32 v0, vcc_lo, s6, v1
	v_add_co_ci_u32_e32 v1, vcc_lo, s7, v7, vcc_lo
	v_cmp_o_f32_e32 vcc_lo, v2, v2
	v_cndmask_b32_e32 v2, 0x7fc0, v8, vcc_lo
	global_store_b16 v[0:1], v2, off
.LBB34_16:                              ;   in Loop: Header=BB34_8 Depth=1
	s_or_b32 exec_lo, exec_lo, s13
	v_add_co_u32 v0, vcc_lo, s10, v13
	v_add_co_ci_u32_e32 v1, vcc_lo, 0, v14, vcc_lo
	s_mov_b32 s13, exec_lo
	s_delay_alu instid0(VALU_DEP_1)
	v_cmpx_gt_i64_e64 s[4:5], v[0:1]
	s_cbranch_execz .LBB34_7
; %bb.17:                               ;   in Loop: Header=BB34_8 Depth=1
	v_cvt_f32_u32_e32 v0, v3
	s_delay_alu instid0(VALU_DEP_1) | instskip(NEXT) | instid1(VALU_DEP_1)
	v_fmaak_f32 v0, 0x2f800000, v0, 0x2f800000
	v_cmp_gt_f32_e32 vcc_lo, 0x800000, v0
	v_cndmask_b32_e64 v1, 1.0, 0x4f800000, vcc_lo
	s_delay_alu instid0(VALU_DEP_1) | instskip(NEXT) | instid1(VALU_DEP_1)
	v_mul_f32_e32 v0, v0, v1
	v_log_f32_e32 v0, v0
	s_waitcnt_depctr 0xfff
	v_mul_f32_e32 v1, 0x3f317217, v0
	s_delay_alu instid0(VALU_DEP_1) | instskip(NEXT) | instid1(VALU_DEP_1)
	v_fma_f32 v2, 0x3f317217, v0, -v1
	v_fmac_f32_e32 v2, 0x3377d1cf, v0
	s_delay_alu instid0(VALU_DEP_1) | instskip(SKIP_2) | instid1(VALU_DEP_3)
	v_add_f32_e32 v1, v1, v2
	v_cndmask_b32_e64 v2, 0, 0x41b17218, vcc_lo
	v_cmp_gt_f32_e64 vcc_lo, 0x7f800000, |v0|
	v_cndmask_b32_e32 v0, v0, v1, vcc_lo
	s_delay_alu instid0(VALU_DEP_1) | instskip(NEXT) | instid1(VALU_DEP_1)
	v_sub_f32_e32 v0, v0, v2
	v_div_scale_f32 v1, null, v43, v43, v0
	v_div_scale_f32 v7, vcc_lo, v0, v43, v0
	s_delay_alu instid0(VALU_DEP_2) | instskip(SKIP_2) | instid1(VALU_DEP_1)
	v_rcp_f32_e32 v2, v1
	s_waitcnt_depctr 0xfff
	v_fma_f32 v3, -v1, v2, 1.0
	v_fmac_f32_e32 v2, v3, v2
	s_delay_alu instid0(VALU_DEP_1) | instskip(NEXT) | instid1(VALU_DEP_1)
	v_mul_f32_e32 v3, v7, v2
	v_fma_f32 v8, -v1, v3, v7
	s_delay_alu instid0(VALU_DEP_1) | instskip(NEXT) | instid1(VALU_DEP_1)
	v_fmac_f32_e32 v3, v8, v2
	v_fma_f32 v1, -v1, v3, v7
	s_delay_alu instid0(VALU_DEP_1) | instskip(NEXT) | instid1(VALU_DEP_1)
	v_div_fmas_f32 v1, v1, v2, v3
	v_div_fixup_f32 v0, v1, v43, v0
	v_add_nc_u32_e32 v1, s12, v40
	s_delay_alu instid0(VALU_DEP_2) | instskip(NEXT) | instid1(VALU_DEP_2)
	v_ceil_f32_e32 v2, v0
	v_ashrrev_i32_e32 v3, 31, v1
	s_delay_alu instid0(VALU_DEP_2) | instskip(NEXT) | instid1(VALU_DEP_1)
	v_bfe_u32 v0, v2, 16, 1
	v_add3_u32 v0, v2, v0, 0x7fff
	s_delay_alu instid0(VALU_DEP_1) | instskip(SKIP_3) | instid1(VALU_DEP_4)
	v_lshrrev_b32_e32 v7, 16, v0
	v_add_co_u32 v0, vcc_lo, s6, v1
	v_add_co_ci_u32_e32 v1, vcc_lo, s7, v3, vcc_lo
	v_cmp_o_f32_e32 vcc_lo, v2, v2
	v_cndmask_b32_e32 v2, 0x7fc0, v7, vcc_lo
	global_store_b16 v[0:1], v2, off
	s_branch .LBB34_7
.LBB34_18:                              ;   in Loop: Header=BB34_8 Depth=1
	s_mov_b32 s14, exec_lo
	v_cmpx_lt_i32_e32 2, v17
	s_xor_b32 s14, exec_lo, s14
; %bb.19:                               ;   in Loop: Header=BB34_8 Depth=1
	v_dual_mov_b32 v7, v3 :: v_dual_mov_b32 v8, v4
	v_mov_b32_e32 v9, v5
	s_delay_alu instid0(VALU_DEP_2) | instskip(NEXT) | instid1(VALU_DEP_2)
	v_dual_mov_b32 v0, v7 :: v_dual_mov_b32 v1, v8
	v_dual_mov_b32 v2, v9 :: v_dual_mov_b32 v3, v10
; %bb.20:                               ;   in Loop: Header=BB34_8 Depth=1
	s_and_not1_saveexec_b32 s14, s14
; %bb.21:                               ;   in Loop: Header=BB34_8 Depth=1
	s_delay_alu instid0(VALU_DEP_1)
	v_dual_mov_b32 v0, v2 :: v_dual_mov_b32 v1, v3
	v_dual_mov_b32 v2, v4 :: v_dual_mov_b32 v3, v5
; %bb.22:                               ;   in Loop: Header=BB34_8 Depth=1
	s_or_b32 exec_lo, exec_lo, s14
	s_and_not1_saveexec_b32 s13, s13
	s_cbranch_execz .LBB34_10
.LBB34_23:                              ;   in Loop: Header=BB34_8 Depth=1
	s_mov_b32 s14, exec_lo
	v_cmpx_eq_u32_e32 1, v17
; %bb.24:                               ;   in Loop: Header=BB34_8 Depth=1
	v_dual_mov_b32 v0, v1 :: v_dual_mov_b32 v1, v2
	v_dual_mov_b32 v2, v3 :: v_dual_mov_b32 v3, v4
; %bb.25:                               ;   in Loop: Header=BB34_8 Depth=1
	s_or_b32 exec_lo, exec_lo, s14
	s_delay_alu instid0(SALU_CYCLE_1) | instskip(NEXT) | instid1(SALU_CYCLE_1)
	s_or_b32 exec_lo, exec_lo, s13
	s_mov_b32 s13, exec_lo
	v_cmpx_gt_i64_e64 s[4:5], v[13:14]
	s_cbranch_execnz .LBB34_11
	s_branch .LBB34_12
.LBB34_26:
	s_endpgm
.LBB34_27:
                                        ; implicit-def: $sgpr2_sgpr3
	s_branch .LBB34_4
	.section	.rodata,"a",@progbits
	.p2align	6, 0x0
	.amdhsa_kernel _ZN2at6native12_GLOBAL__N_143distribution_elementwise_grid_stride_kernelIfLi4EZNS0_9templates4cuda21uniform_and_transformIN3c108BFloat16EfPNS_17CUDAGeneratorImplEZZZNS4_16geometric_kernelIS9_EEvRNS_18TensorIteratorBaseEdT_ENKUlvE_clEvENKUlvE7_clEvEUlfE_EEvSC_T1_T2_EUlP25hiprandStatePhilox4_32_10E0_ZNS1_27distribution_nullary_kernelIS7_f15HIP_vector_typeIfLj4EES9_SL_SG_EEvSC_SI_RKT3_T4_EUlifE_EEvlNS_15PhiloxCudaStateESH_SI_
		.amdhsa_group_segment_fixed_size 0
		.amdhsa_private_segment_fixed_size 0
		.amdhsa_kernarg_size 328
		.amdhsa_user_sgpr_count 15
		.amdhsa_user_sgpr_dispatch_ptr 0
		.amdhsa_user_sgpr_queue_ptr 0
		.amdhsa_user_sgpr_kernarg_segment_ptr 1
		.amdhsa_user_sgpr_dispatch_id 0
		.amdhsa_user_sgpr_private_segment_size 0
		.amdhsa_wavefront_size32 1
		.amdhsa_uses_dynamic_stack 0
		.amdhsa_enable_private_segment 0
		.amdhsa_system_sgpr_workgroup_id_x 1
		.amdhsa_system_sgpr_workgroup_id_y 0
		.amdhsa_system_sgpr_workgroup_id_z 0
		.amdhsa_system_sgpr_workgroup_info 0
		.amdhsa_system_vgpr_workitem_id 0
		.amdhsa_next_free_vgpr 45
		.amdhsa_next_free_sgpr 23
		.amdhsa_reserve_vcc 1
		.amdhsa_float_round_mode_32 0
		.amdhsa_float_round_mode_16_64 0
		.amdhsa_float_denorm_mode_32 3
		.amdhsa_float_denorm_mode_16_64 3
		.amdhsa_dx10_clamp 1
		.amdhsa_ieee_mode 1
		.amdhsa_fp16_overflow 0
		.amdhsa_workgroup_processor_mode 1
		.amdhsa_memory_ordered 1
		.amdhsa_forward_progress 0
		.amdhsa_shared_vgpr_count 0
		.amdhsa_exception_fp_ieee_invalid_op 0
		.amdhsa_exception_fp_denorm_src 0
		.amdhsa_exception_fp_ieee_div_zero 0
		.amdhsa_exception_fp_ieee_overflow 0
		.amdhsa_exception_fp_ieee_underflow 0
		.amdhsa_exception_fp_ieee_inexact 0
		.amdhsa_exception_int_div_zero 0
	.end_amdhsa_kernel
	.section	.text._ZN2at6native12_GLOBAL__N_143distribution_elementwise_grid_stride_kernelIfLi4EZNS0_9templates4cuda21uniform_and_transformIN3c108BFloat16EfPNS_17CUDAGeneratorImplEZZZNS4_16geometric_kernelIS9_EEvRNS_18TensorIteratorBaseEdT_ENKUlvE_clEvENKUlvE7_clEvEUlfE_EEvSC_T1_T2_EUlP25hiprandStatePhilox4_32_10E0_ZNS1_27distribution_nullary_kernelIS7_f15HIP_vector_typeIfLj4EES9_SL_SG_EEvSC_SI_RKT3_T4_EUlifE_EEvlNS_15PhiloxCudaStateESH_SI_,"axG",@progbits,_ZN2at6native12_GLOBAL__N_143distribution_elementwise_grid_stride_kernelIfLi4EZNS0_9templates4cuda21uniform_and_transformIN3c108BFloat16EfPNS_17CUDAGeneratorImplEZZZNS4_16geometric_kernelIS9_EEvRNS_18TensorIteratorBaseEdT_ENKUlvE_clEvENKUlvE7_clEvEUlfE_EEvSC_T1_T2_EUlP25hiprandStatePhilox4_32_10E0_ZNS1_27distribution_nullary_kernelIS7_f15HIP_vector_typeIfLj4EES9_SL_SG_EEvSC_SI_RKT3_T4_EUlifE_EEvlNS_15PhiloxCudaStateESH_SI_,comdat
.Lfunc_end34:
	.size	_ZN2at6native12_GLOBAL__N_143distribution_elementwise_grid_stride_kernelIfLi4EZNS0_9templates4cuda21uniform_and_transformIN3c108BFloat16EfPNS_17CUDAGeneratorImplEZZZNS4_16geometric_kernelIS9_EEvRNS_18TensorIteratorBaseEdT_ENKUlvE_clEvENKUlvE7_clEvEUlfE_EEvSC_T1_T2_EUlP25hiprandStatePhilox4_32_10E0_ZNS1_27distribution_nullary_kernelIS7_f15HIP_vector_typeIfLj4EES9_SL_SG_EEvSC_SI_RKT3_T4_EUlifE_EEvlNS_15PhiloxCudaStateESH_SI_, .Lfunc_end34-_ZN2at6native12_GLOBAL__N_143distribution_elementwise_grid_stride_kernelIfLi4EZNS0_9templates4cuda21uniform_and_transformIN3c108BFloat16EfPNS_17CUDAGeneratorImplEZZZNS4_16geometric_kernelIS9_EEvRNS_18TensorIteratorBaseEdT_ENKUlvE_clEvENKUlvE7_clEvEUlfE_EEvSC_T1_T2_EUlP25hiprandStatePhilox4_32_10E0_ZNS1_27distribution_nullary_kernelIS7_f15HIP_vector_typeIfLj4EES9_SL_SG_EEvSC_SI_RKT3_T4_EUlifE_EEvlNS_15PhiloxCudaStateESH_SI_
                                        ; -- End function
	.section	.AMDGPU.csdata,"",@progbits
; Kernel info:
; codeLenInByte = 4560
; NumSgprs: 25
; NumVgprs: 45
; ScratchSize: 0
; MemoryBound: 0
; FloatMode: 240
; IeeeMode: 1
; LDSByteSize: 0 bytes/workgroup (compile time only)
; SGPRBlocks: 3
; VGPRBlocks: 5
; NumSGPRsForWavesPerEU: 25
; NumVGPRsForWavesPerEU: 45
; Occupancy: 16
; WaveLimiterHint : 0
; COMPUTE_PGM_RSRC2:SCRATCH_EN: 0
; COMPUTE_PGM_RSRC2:USER_SGPR: 15
; COMPUTE_PGM_RSRC2:TRAP_HANDLER: 0
; COMPUTE_PGM_RSRC2:TGID_X_EN: 1
; COMPUTE_PGM_RSRC2:TGID_Y_EN: 0
; COMPUTE_PGM_RSRC2:TGID_Z_EN: 0
; COMPUTE_PGM_RSRC2:TIDIG_COMP_CNT: 0
	.section	.text._ZN2at6native12_GLOBAL__N_143distribution_elementwise_grid_stride_kernelIfLi4EZNS0_9templates4cuda21uniform_and_transformIN3c108BFloat16EfPNS_17CUDAGeneratorImplEZZZNS4_16geometric_kernelIS9_EEvRNS_18TensorIteratorBaseEdT_ENKUlvE_clEvENKUlvE7_clEvEUlfE_EEvSC_T1_T2_EUlP25hiprandStatePhilox4_32_10E0_ZNS1_27distribution_nullary_kernelIS7_f15HIP_vector_typeIfLj4EES9_SL_SG_EEvSC_SI_RKT3_T4_EUlifE0_EEvlNS_15PhiloxCudaStateESH_SI_,"axG",@progbits,_ZN2at6native12_GLOBAL__N_143distribution_elementwise_grid_stride_kernelIfLi4EZNS0_9templates4cuda21uniform_and_transformIN3c108BFloat16EfPNS_17CUDAGeneratorImplEZZZNS4_16geometric_kernelIS9_EEvRNS_18TensorIteratorBaseEdT_ENKUlvE_clEvENKUlvE7_clEvEUlfE_EEvSC_T1_T2_EUlP25hiprandStatePhilox4_32_10E0_ZNS1_27distribution_nullary_kernelIS7_f15HIP_vector_typeIfLj4EES9_SL_SG_EEvSC_SI_RKT3_T4_EUlifE0_EEvlNS_15PhiloxCudaStateESH_SI_,comdat
	.globl	_ZN2at6native12_GLOBAL__N_143distribution_elementwise_grid_stride_kernelIfLi4EZNS0_9templates4cuda21uniform_and_transformIN3c108BFloat16EfPNS_17CUDAGeneratorImplEZZZNS4_16geometric_kernelIS9_EEvRNS_18TensorIteratorBaseEdT_ENKUlvE_clEvENKUlvE7_clEvEUlfE_EEvSC_T1_T2_EUlP25hiprandStatePhilox4_32_10E0_ZNS1_27distribution_nullary_kernelIS7_f15HIP_vector_typeIfLj4EES9_SL_SG_EEvSC_SI_RKT3_T4_EUlifE0_EEvlNS_15PhiloxCudaStateESH_SI_ ; -- Begin function _ZN2at6native12_GLOBAL__N_143distribution_elementwise_grid_stride_kernelIfLi4EZNS0_9templates4cuda21uniform_and_transformIN3c108BFloat16EfPNS_17CUDAGeneratorImplEZZZNS4_16geometric_kernelIS9_EEvRNS_18TensorIteratorBaseEdT_ENKUlvE_clEvENKUlvE7_clEvEUlfE_EEvSC_T1_T2_EUlP25hiprandStatePhilox4_32_10E0_ZNS1_27distribution_nullary_kernelIS7_f15HIP_vector_typeIfLj4EES9_SL_SG_EEvSC_SI_RKT3_T4_EUlifE0_EEvlNS_15PhiloxCudaStateESH_SI_
	.p2align	8
	.type	_ZN2at6native12_GLOBAL__N_143distribution_elementwise_grid_stride_kernelIfLi4EZNS0_9templates4cuda21uniform_and_transformIN3c108BFloat16EfPNS_17CUDAGeneratorImplEZZZNS4_16geometric_kernelIS9_EEvRNS_18TensorIteratorBaseEdT_ENKUlvE_clEvENKUlvE7_clEvEUlfE_EEvSC_T1_T2_EUlP25hiprandStatePhilox4_32_10E0_ZNS1_27distribution_nullary_kernelIS7_f15HIP_vector_typeIfLj4EES9_SL_SG_EEvSC_SI_RKT3_T4_EUlifE0_EEvlNS_15PhiloxCudaStateESH_SI_,@function
_ZN2at6native12_GLOBAL__N_143distribution_elementwise_grid_stride_kernelIfLi4EZNS0_9templates4cuda21uniform_and_transformIN3c108BFloat16EfPNS_17CUDAGeneratorImplEZZZNS4_16geometric_kernelIS9_EEvRNS_18TensorIteratorBaseEdT_ENKUlvE_clEvENKUlvE7_clEvEUlfE_EEvSC_T1_T2_EUlP25hiprandStatePhilox4_32_10E0_ZNS1_27distribution_nullary_kernelIS7_f15HIP_vector_typeIfLj4EES9_SL_SG_EEvSC_SI_RKT3_T4_EUlifE0_EEvlNS_15PhiloxCudaStateESH_SI_: ; @_ZN2at6native12_GLOBAL__N_143distribution_elementwise_grid_stride_kernelIfLi4EZNS0_9templates4cuda21uniform_and_transformIN3c108BFloat16EfPNS_17CUDAGeneratorImplEZZZNS4_16geometric_kernelIS9_EEvRNS_18TensorIteratorBaseEdT_ENKUlvE_clEvENKUlvE7_clEvEUlfE_EEvSC_T1_T2_EUlP25hiprandStatePhilox4_32_10E0_ZNS1_27distribution_nullary_kernelIS7_f15HIP_vector_typeIfLj4EES9_SL_SG_EEvSC_SI_RKT3_T4_EUlifE0_EEvlNS_15PhiloxCudaStateESH_SI_
; %bb.0:
	s_clause 0x2
	s_load_b64 s[4:5], s[0:1], 0x10
	s_load_b128 s[16:19], s[0:1], 0x0
	s_load_b32 s2, s[0:1], 0x20
	s_waitcnt lgkmcnt(0)
	v_dual_mov_b32 v2, s4 :: v_dual_mov_b32 v3, s5
	v_dual_mov_b32 v11, s18 :: v_dual_mov_b32 v12, s19
	s_bitcmp0_b32 s2, 0
	s_mov_b32 s2, 0
	s_cbranch_scc1 .LBB35_2
; %bb.1:
	v_dual_mov_b32 v1, s4 :: v_dual_mov_b32 v2, s5
	v_dual_mov_b32 v4, s18 :: v_dual_mov_b32 v5, s19
	s_load_b64 s[4:5], s[0:1], 0x18
	flat_load_b64 v[2:3], v[1:2]
	flat_load_b64 v[11:12], v[4:5]
	s_waitcnt vmcnt(1) lgkmcnt(0)
	v_add_co_u32 v2, vcc_lo, v2, s4
	v_add_co_ci_u32_e32 v3, vcc_lo, s5, v3, vcc_lo
.LBB35_2:
	s_clause 0x1
	s_load_b32 s3, s[0:1], 0x154
	s_load_b32 s4, s[0:1], 0x148
	s_waitcnt lgkmcnt(0)
	s_and_b32 s5, s3, 0xffff
	s_add_u32 s6, s16, -1
	s_mul_i32 s24, s4, s5
	s_addc_u32 s3, s17, -1
	s_lshl_b32 s25, s24, 2
	s_cmp_lg_u64 s[2:3], 0
	s_cbranch_scc0 .LBB35_79
; %bb.3:
	v_cvt_f32_ubyte0_e32 v1, 0
	v_cvt_f32_u32_e32 v4, s25
	s_sub_u32 s8, 0, s25
	s_subb_u32 s9, 0, 0
	s_delay_alu instid0(VALU_DEP_1) | instskip(NEXT) | instid1(VALU_DEP_1)
	v_fmamk_f32 v1, v1, 0x4f800000, v4
	v_rcp_f32_e32 v1, v1
	s_waitcnt_depctr 0xfff
	v_mul_f32_e32 v1, 0x5f7ffffc, v1
	s_delay_alu instid0(VALU_DEP_1) | instskip(NEXT) | instid1(VALU_DEP_1)
	v_mul_f32_e32 v4, 0x2f800000, v1
	v_trunc_f32_e32 v4, v4
	s_delay_alu instid0(VALU_DEP_1) | instskip(SKIP_1) | instid1(VALU_DEP_2)
	v_fmamk_f32 v1, v4, 0xcf800000, v1
	v_cvt_u32_f32_e32 v4, v4
	v_cvt_u32_f32_e32 v1, v1
	s_delay_alu instid0(VALU_DEP_2) | instskip(NEXT) | instid1(VALU_DEP_2)
	v_readfirstlane_b32 s2, v4
	v_readfirstlane_b32 s7, v1
	s_delay_alu instid0(VALU_DEP_2) | instskip(NEXT) | instid1(VALU_DEP_1)
	s_mul_i32 s10, s8, s2
	s_mul_hi_u32 s12, s8, s7
	s_mul_i32 s11, s9, s7
	s_add_i32 s10, s12, s10
	s_mul_i32 s13, s8, s7
	s_add_i32 s10, s10, s11
	s_mul_hi_u32 s12, s7, s13
	s_mul_hi_u32 s14, s2, s13
	s_mul_i32 s11, s2, s13
	s_mul_hi_u32 s13, s7, s10
	s_mul_i32 s7, s7, s10
	s_mul_hi_u32 s18, s2, s10
	s_add_u32 s7, s12, s7
	s_addc_u32 s12, 0, s13
	s_add_u32 s7, s7, s11
	s_mul_i32 s10, s2, s10
	s_addc_u32 s7, s12, s14
	s_addc_u32 s11, s18, 0
	s_add_u32 s7, s7, s10
	s_addc_u32 s10, 0, s11
	v_add_co_u32 v1, s7, v1, s7
	s_delay_alu instid0(VALU_DEP_1) | instskip(SKIP_1) | instid1(VALU_DEP_1)
	s_cmp_lg_u32 s7, 0
	s_addc_u32 s2, s2, s10
	v_readfirstlane_b32 s7, v1
	s_mul_i32 s10, s8, s2
	s_delay_alu instid0(VALU_DEP_1)
	s_mul_hi_u32 s11, s8, s7
	s_mul_i32 s9, s9, s7
	s_add_i32 s10, s11, s10
	s_mul_i32 s8, s8, s7
	s_add_i32 s10, s10, s9
	s_mul_hi_u32 s11, s2, s8
	s_mul_i32 s12, s2, s8
	s_mul_hi_u32 s8, s7, s8
	s_mul_hi_u32 s13, s7, s10
	s_mul_i32 s7, s7, s10
	s_mul_hi_u32 s9, s2, s10
	s_add_u32 s7, s8, s7
	s_addc_u32 s8, 0, s13
	s_add_u32 s7, s7, s12
	s_mul_i32 s10, s2, s10
	s_addc_u32 s7, s8, s11
	s_addc_u32 s8, s9, 0
	s_add_u32 s7, s7, s10
	s_addc_u32 s8, 0, s8
	v_add_co_u32 v1, s7, v1, s7
	s_delay_alu instid0(VALU_DEP_1) | instskip(SKIP_2) | instid1(VALU_DEP_1)
	s_cmp_lg_u32 s7, 0
	s_addc_u32 s7, s2, s8
	s_ashr_i32 s8, s3, 31
	v_readfirstlane_b32 s10, v1
	s_add_u32 s2, s6, s8
	s_mov_b32 s9, s8
	s_addc_u32 s3, s3, s8
	s_delay_alu instid0(SALU_CYCLE_1) | instskip(NEXT) | instid1(SALU_CYCLE_1)
	s_xor_b64 s[2:3], s[2:3], s[8:9]
	s_mul_i32 s12, s2, s7
	s_mul_hi_u32 s13, s2, s10
	s_mul_hi_u32 s11, s2, s7
	;; [unrolled: 1-line block ×3, first 2 shown]
	s_mul_i32 s10, s3, s10
	s_add_u32 s12, s13, s12
	s_addc_u32 s11, 0, s11
	s_mul_hi_u32 s14, s3, s7
	s_add_u32 s10, s12, s10
	s_mul_i32 s7, s3, s7
	s_addc_u32 s10, s11, s18
	s_addc_u32 s11, s14, 0
	s_add_u32 s7, s10, s7
	s_addc_u32 s10, 0, s11
	s_mul_i32 s12, s25, s7
	s_add_u32 s11, s7, 1
	v_sub_co_u32 v1, s2, s2, s12
	s_mul_hi_u32 s12, s25, s7
	s_addc_u32 s13, s10, 0
	s_mul_i32 s14, s25, s10
	s_delay_alu instid0(VALU_DEP_1)
	v_sub_co_u32 v4, s18, v1, s25
	s_add_u32 s19, s7, 2
	s_addc_u32 s20, s10, 0
	s_add_i32 s12, s12, s14
	s_cmp_lg_u32 s2, 0
	v_readfirstlane_b32 s2, v4
	s_subb_u32 s3, s3, s12
	s_cmp_lg_u32 s18, 0
	s_subb_u32 s12, s3, 0
	s_delay_alu instid0(VALU_DEP_1) | instskip(SKIP_4) | instid1(SALU_CYCLE_1)
	s_cmp_ge_u32 s2, s25
	s_cselect_b32 s2, -1, 0
	s_cmp_eq_u32 s12, 0
	v_readfirstlane_b32 s12, v1
	s_cselect_b32 s2, s2, -1
	s_cmp_lg_u32 s2, 0
	s_cselect_b32 s2, s19, s11
	s_cselect_b32 s11, s20, s13
	s_cmp_ge_u32 s12, s25
	s_cselect_b32 s12, -1, 0
	s_cmp_eq_u32 s3, 0
	s_cselect_b32 s3, s12, -1
	s_delay_alu instid0(SALU_CYCLE_1) | instskip(SKIP_2) | instid1(SALU_CYCLE_1)
	s_cmp_lg_u32 s3, 0
	s_cselect_b32 s3, s11, s10
	s_cselect_b32 s2, s2, s7
	s_xor_b64 s[2:3], s[2:3], s[8:9]
	s_delay_alu instid0(SALU_CYCLE_1)
	s_sub_u32 s2, s2, s8
	s_subb_u32 s3, s3, s8
	s_cbranch_execnz .LBB35_5
.LBB35_4:
	v_cvt_f32_u32_e32 v1, s25
	s_sub_i32 s3, 0, s25
	s_delay_alu instid0(VALU_DEP_1) | instskip(SKIP_2) | instid1(VALU_DEP_1)
	v_rcp_iflag_f32_e32 v1, v1
	s_waitcnt_depctr 0xfff
	v_mul_f32_e32 v1, 0x4f7ffffe, v1
	v_cvt_u32_f32_e32 v1, v1
	s_delay_alu instid0(VALU_DEP_1) | instskip(NEXT) | instid1(VALU_DEP_1)
	v_readfirstlane_b32 s2, v1
	s_mul_i32 s3, s3, s2
	s_delay_alu instid0(SALU_CYCLE_1) | instskip(NEXT) | instid1(SALU_CYCLE_1)
	s_mul_hi_u32 s3, s2, s3
	s_add_i32 s2, s2, s3
	s_delay_alu instid0(SALU_CYCLE_1) | instskip(NEXT) | instid1(SALU_CYCLE_1)
	s_mul_hi_u32 s2, s6, s2
	s_mul_i32 s3, s2, s25
	s_delay_alu instid0(SALU_CYCLE_1)
	s_sub_i32 s3, s6, s3
	s_add_i32 s6, s2, 1
	s_sub_i32 s7, s3, s25
	s_cmp_ge_u32 s3, s25
	s_cselect_b32 s2, s6, s2
	s_cselect_b32 s3, s7, s3
	s_add_i32 s6, s2, 1
	s_cmp_ge_u32 s3, s25
	s_mov_b32 s3, 0
	s_cselect_b32 s2, s6, s2
.LBB35_5:
	v_mov_b32_e32 v1, 0
	s_add_u32 s2, s2, 1
	s_addc_u32 s3, s3, 0
	s_mul_hi_u32 s6, s24, s2
	s_mul_i32 s3, s24, s3
	v_mad_u64_u32 v[13:14], null, s5, s15, v[0:1]
	s_mul_hi_u32 s4, s4, s5
	s_add_i32 s3, s6, s3
	s_mul_i32 s4, s4, s2
	s_mul_i32 s2, s24, s2
	s_add_i32 s3, s3, s4
	s_mov_b32 s4, exec_lo
	s_lshl_b64 s[2:3], s[2:3], 2
	s_delay_alu instid0(SALU_CYCLE_1)
	v_cmpx_gt_i64_e64 s[2:3], v[13:14]
	s_cbranch_execz .LBB35_78
; %bb.6:
	s_load_b128 s[12:15], s[0:1], 0x138
	v_alignbit_b32 v24, v3, v2, 2
	s_waitcnt vmcnt(0)
	v_dual_mov_b32 v38, v12 :: v_dual_add_nc_u32 v19, 0x96a522ad, v12
	v_add_co_u32 v23, null, 0x9e3779b9, v11
	s_load_b256 s[4:11], s[0:1], 0x30
	s_waitcnt lgkmcnt(0)
	s_mov_b32 s11, 0x3e9b6dac
	v_add_co_u32 v26, null, 0x3c6ef372, v11
	v_add_co_u32 v32, null, 0x76cf5d0a, v38
	;; [unrolled: 1-line block ×6, first 2 shown]
	v_cvt_f32_f64_e32 v9, s[14:15]
	v_add_co_u32 v28, null, 0xb54cda56, v11
	v_add_co_u32 v33, null, 0xdb3d7428, v38
	;; [unrolled: 1-line block ×3, first 2 shown]
	s_add_u32 s18, s0, 48
	v_add_co_u32 v30, null, 0xf1bbcdc8, v11
	s_addc_u32 s19, s1, 0
	s_add_i32 s20, s4, -1
	s_load_b64 s[14:15], s[0:1], 0xf4
	s_cmp_gt_u32 s20, 1
	s_mov_b32 s26, 0
	s_mul_i32 s33, s24, 3
	v_add_nc_u32_e32 v18, 0x8ff34781, v11
	v_sub_f32_e32 v4, 1.0, v9
	s_delay_alu instid0(VALU_DEP_1) | instskip(NEXT) | instid1(VALU_DEP_1)
	v_cvt_f64_f32_e32 v[0:1], v4
	v_frexp_exp_i32_f64_e32 v0, v[0:1]
	v_frexp_mant_f32_e32 v1, v4
	s_delay_alu instid0(VALU_DEP_1) | instskip(NEXT) | instid1(VALU_DEP_3)
	v_cmp_gt_f32_e32 vcc_lo, 0x3f2aaaab, v1
	v_subrev_co_ci_u32_e32 v8, vcc_lo, 0, v0, vcc_lo
	v_add_f32_e32 v0, -1.0, v4
	v_cmp_eq_f32_e32 vcc_lo, 0xff800000, v9
	s_delay_alu instid0(VALU_DEP_3) | instskip(SKIP_1) | instid1(VALU_DEP_4)
	v_sub_nc_u32_e32 v1, 0, v8
	v_cvt_f32_i32_e32 v8, v8
	v_sub_f32_e32 v5, v0, v4
	s_delay_alu instid0(VALU_DEP_3) | instskip(NEXT) | instid1(VALU_DEP_2)
	v_ldexp_f32 v4, v4, v1
	v_add_f32_e32 v5, 1.0, v5
	v_sub_f32_e64 v0, -v9, v0
	s_delay_alu instid0(VALU_DEP_3) | instskip(NEXT) | instid1(VALU_DEP_1)
	v_add_f32_e32 v6, 1.0, v4
	v_dual_add_f32 v0, v0, v5 :: v_dual_add_f32 v5, -1.0, v6
	s_delay_alu instid0(VALU_DEP_1) | instskip(SKIP_1) | instid1(VALU_DEP_3)
	v_ldexp_f32 v0, v0, v1
	v_add_f32_e32 v1, -1.0, v4
	v_sub_f32_e32 v5, v4, v5
	s_delay_alu instid0(VALU_DEP_2) | instskip(NEXT) | instid1(VALU_DEP_2)
	v_add_f32_e32 v7, 1.0, v1
	v_add_f32_e32 v5, v0, v5
	s_delay_alu instid0(VALU_DEP_2) | instskip(NEXT) | instid1(VALU_DEP_1)
	v_sub_f32_e32 v4, v4, v7
	v_add_f32_e32 v0, v0, v4
	s_delay_alu instid0(VALU_DEP_1) | instskip(NEXT) | instid1(VALU_DEP_1)
	v_dual_add_f32 v4, v1, v0 :: v_dual_add_f32 v7, v6, v5
	v_sub_f32_e32 v1, v4, v1
	s_delay_alu instid0(VALU_DEP_2) | instskip(SKIP_1) | instid1(VALU_DEP_1)
	v_rcp_f32_e32 v10, v7
	v_sub_f32_e32 v6, v7, v6
	v_dual_sub_f32 v0, v0, v1 :: v_dual_sub_f32 v5, v5, v6
	s_waitcnt_depctr 0xfff
	v_mul_f32_e32 v15, v4, v10
	s_delay_alu instid0(VALU_DEP_1) | instskip(NEXT) | instid1(VALU_DEP_1)
	v_mul_f32_e32 v16, v7, v15
	v_fma_f32 v6, v15, v7, -v16
	s_delay_alu instid0(VALU_DEP_1) | instskip(NEXT) | instid1(VALU_DEP_1)
	v_fmac_f32_e32 v6, v15, v5
	v_add_f32_e32 v17, v16, v6
	s_delay_alu instid0(VALU_DEP_1) | instskip(NEXT) | instid1(VALU_DEP_1)
	v_sub_f32_e32 v25, v4, v17
	v_dual_sub_f32 v1, v17, v16 :: v_dual_sub_f32 v4, v4, v25
	s_delay_alu instid0(VALU_DEP_1) | instskip(NEXT) | instid1(VALU_DEP_1)
	v_dual_sub_f32 v1, v1, v6 :: v_dual_sub_f32 v4, v4, v17
	v_dual_add_f32 v0, v0, v4 :: v_dual_and_b32 v17, 3, v2
	s_delay_alu instid0(VALU_DEP_1) | instskip(SKIP_1) | instid1(VALU_DEP_2)
	v_add_f32_e32 v4, v1, v0
	v_mad_u64_u32 v[0:1], null, 0xcd9e8d57, v13, 0
	v_add_f32_e32 v6, v25, v4
	s_delay_alu instid0(VALU_DEP_1) | instskip(SKIP_2) | instid1(VALU_DEP_3)
	v_mul_f32_e32 v16, v10, v6
	v_sub_f32_e32 v2, v25, v6
	v_lshrrev_b32_e32 v25, 2, v3
	v_mul_f32_e32 v27, v7, v16
	v_add_f32_e32 v36, v15, v16
	s_delay_alu instid0(VALU_DEP_3) | instskip(SKIP_1) | instid1(VALU_DEP_4)
	v_xor3_b32 v1, v11, v1, v25
	v_add_f32_e32 v4, v4, v2
	v_fma_f32 v7, v16, v7, -v27
	s_delay_alu instid0(VALU_DEP_1) | instskip(NEXT) | instid1(VALU_DEP_1)
	v_fmac_f32_e32 v7, v16, v5
	v_add_f32_e32 v5, v27, v7
	s_delay_alu instid0(VALU_DEP_1) | instskip(NEXT) | instid1(VALU_DEP_1)
	v_sub_f32_e32 v29, v6, v5
	v_dual_sub_f32 v3, v6, v29 :: v_dual_sub_f32 v6, v5, v27
	v_add_co_u32 v27, null, 0x78dde6e4, v11
	s_delay_alu instid0(VALU_DEP_2) | instskip(SKIP_2) | instid1(VALU_DEP_3)
	v_dual_sub_f32 v5, v3, v5 :: v_dual_sub_f32 v6, v6, v7
	v_mad_u64_u32 v[2:3], null, 0xd2511f53, v24, 0
	v_sub_f32_e32 v7, v36, v15
	v_add_f32_e32 v4, v4, v5
	s_delay_alu instid0(VALU_DEP_3) | instskip(NEXT) | instid1(VALU_DEP_2)
	v_xor_b32_e32 v5, v3, v12
	v_add_f32_e32 v6, v6, v4
	v_mad_u64_u32 v[3:4], null, 0xd2511f53, v1, 0
	s_delay_alu instid0(VALU_DEP_3) | instskip(NEXT) | instid1(VALU_DEP_3)
	v_xor_b32_e32 v1, v5, v14
	v_add_f32_e32 v15, v29, v6
	v_add_co_u32 v29, null, 0xbb67ae85, v38
	s_delay_alu instid0(VALU_DEP_3) | instskip(SKIP_1) | instid1(VALU_DEP_4)
	v_mad_u64_u32 v[5:6], null, 0xcd9e8d57, v1, 0
	v_sub_f32_e32 v1, v16, v7
	v_mul_f32_e32 v7, v10, v15
	s_delay_alu instid0(VALU_DEP_4) | instskip(NEXT) | instid1(VALU_DEP_4)
	v_xor3_b32 v4, v29, v4, v2
	v_xor3_b32 v0, v23, v6, v0
	s_delay_alu instid0(VALU_DEP_3) | instskip(NEXT) | instid1(VALU_DEP_3)
	v_add_f32_e32 v10, v1, v7
	v_mad_u64_u32 v[1:2], null, 0xcd9e8d57, v4, 0
	s_delay_alu instid0(VALU_DEP_3) | instskip(NEXT) | instid1(VALU_DEP_3)
	v_mad_u64_u32 v[6:7], null, 0xd2511f53, v0, 0
	v_add_f32_e32 v15, v36, v10
	v_mov_b32_e32 v31, v13
	s_delay_alu instid0(VALU_DEP_4) | instskip(NEXT) | instid1(VALU_DEP_3)
	v_xor3_b32 v2, v26, v2, v5
	v_mul_f32_e32 v0, v15, v15
	v_xor3_b32 v7, v32, v7, v3
	s_delay_alu instid0(VALU_DEP_3) | instskip(NEXT) | instid1(VALU_DEP_3)
	v_mad_u64_u32 v[4:5], null, 0xd2511f53, v2, 0
	v_fmaak_f32 v16, s11, v0, 0x3ecc95a3
	s_delay_alu instid0(VALU_DEP_3) | instskip(SKIP_2) | instid1(VALU_DEP_3)
	v_mad_u64_u32 v[2:3], null, 0xcd9e8d57, v7, 0
	v_mul_f32_e32 v35, v15, v0
	s_cselect_b32 s11, -1, 0
	v_fmaak_f32 v0, v0, v16, 0x3f2aaada
	s_cmp_lg_u32 s4, 0
	s_cselect_b32 s27, -1, 0
	s_delay_alu instid0(VALU_DEP_3) | instskip(NEXT) | instid1(VALU_DEP_2)
	v_xor3_b32 v3, v22, v3, v1
	v_mul_f32_e32 v16, v35, v0
	v_xor3_b32 v0, v34, v5, v6
	v_mul_f32_e32 v40, 0x3f317218, v8
	v_ldexp_f32 v7, v15, 1
	v_add_co_u32 v35, null, 0x646e171e, v38
	s_delay_alu instid0(VALU_DEP_4)
	v_mad_u64_u32 v[5:6], null, 0xcd9e8d57, v0, 0
	v_mad_u64_u32 v[0:1], null, 0xd2511f53, v3, 0
	v_fma_f32 v3, 0x3f317218, v8, -v40
	v_sub_f32_e32 v15, v15, v36
	v_add_co_u32 v36, null, 0xed9eba14, v38
	v_xor3_b32 v6, v27, v6, v2
	s_delay_alu instid0(VALU_DEP_4) | instskip(NEXT) | instid1(VALU_DEP_4)
	v_dual_fmamk_f32 v8, v8, 0xb102e308, v3 :: v_dual_add_f32 v39, v7, v16
	v_sub_f32_e32 v10, v10, v15
	s_delay_alu instid0(VALU_DEP_4) | instskip(NEXT) | instid1(VALU_DEP_4)
	v_xor3_b32 v1, v36, v1, v4
	v_mad_u64_u32 v[2:3], null, 0xd2511f53, v6, 0
	s_delay_alu instid0(VALU_DEP_4) | instskip(NEXT) | instid1(VALU_DEP_4)
	v_sub_f32_e32 v7, v39, v7
	v_ldexp_f32 v10, v10, 1
	v_add_co_u32 v38, null, 0x1fd5c5a3, v38
	s_add_u32 s0, s0, 0xf4
	s_delay_alu instid0(VALU_DEP_3)
	v_sub_f32_e32 v7, v16, v7
	v_add_f32_e32 v15, v40, v8
	v_xor3_b32 v3, v37, v3, v0
	s_addc_u32 s1, s1, 0
	s_min_u32 s21, s20, 15
	v_add_f32_e32 v10, v10, v7
	v_mad_u64_u32 v[6:7], null, 0xcd9e8d57, v1, 0
	v_mad_u64_u32 v[0:1], null, 0xcd9e8d57, v3, 0
	s_cmp_gt_u32 s4, 1
	s_cselect_b32 s4, -1, 0
	s_add_i32 s21, s21, 1
	s_delay_alu instid0(VALU_DEP_2) | instskip(SKIP_2) | instid1(VALU_DEP_4)
	v_xor3_b32 v5, v21, v7, v5
	v_sub_f32_e32 v7, v15, v40
	v_add_f32_e32 v16, v39, v10
	v_xor3_b32 v6, v28, v1, v6
	s_lshl_b32 s28, s24, 1
	v_mad_u64_u32 v[3:4], null, 0xd2511f53, v5, 0
	v_sub_f32_e32 v7, v8, v7
	v_sub_f32_e32 v39, v16, v39
	v_add_f32_e32 v41, v15, v16
	s_and_b32 s29, s21, 3
	s_cmp_lg_u32 s20, 2
	v_cmp_gt_f32_e64 s20, 0x33800000, |v9|
	v_sub_f32_e32 v8, v10, v39
	v_sub_f32_e32 v42, v41, v15
	s_cselect_b32 s30, -1, 0
	s_and_b32 s31, s21, 28
	s_cmp_lg_u32 s29, 0
	s_delay_alu instid0(VALU_DEP_1) | instskip(SKIP_1) | instid1(VALU_DEP_1)
	v_sub_f32_e32 v40, v41, v42
	s_cselect_b32 s34, -1, 0
	v_sub_f32_e32 v10, v15, v40
	v_add_f32_e32 v15, v7, v8
	v_dual_sub_f32 v5, v16, v42 :: v_dual_mov_b32 v40, v14
	s_delay_alu instid0(VALU_DEP_1) | instskip(SKIP_2) | instid1(VALU_DEP_3)
	v_dual_sub_f32 v16, v15, v7 :: v_dual_add_f32 v5, v5, v10
	v_xor3_b32 v10, v35, v4, v2
	v_mad_u64_u32 v[1:2], null, 0xd2511f53, v6, 0
	v_sub_f32_e32 v6, v15, v16
	s_delay_alu instid0(VALU_DEP_4) | instskip(NEXT) | instid1(VALU_DEP_4)
	v_dual_add_f32 v39, v15, v5 :: v_dual_sub_f32 v8, v8, v16
	v_mad_u64_u32 v[4:5], null, 0xcd9e8d57, v10, 0
	s_delay_alu instid0(VALU_DEP_3) | instskip(NEXT) | instid1(VALU_DEP_3)
	v_sub_f32_e32 v6, v7, v6
	v_add_f32_e32 v10, v41, v39
	v_xor3_b32 v2, v38, v2, v3
	s_delay_alu instid0(VALU_DEP_3) | instskip(NEXT) | instid1(VALU_DEP_3)
	v_add_f32_e32 v3, v8, v6
	v_sub_f32_e32 v7, v10, v41
	v_xor3_b32 v0, v20, v5, v0
	s_delay_alu instid0(VALU_DEP_4) | instskip(NEXT) | instid1(VALU_DEP_3)
	v_mad_u64_u32 v[5:6], null, 0xcd9e8d57, v2, 0
	v_sub_f32_e32 v15, v39, v7
	s_delay_alu instid0(VALU_DEP_3) | instskip(NEXT) | instid1(VALU_DEP_2)
	v_mad_u64_u32 v[7:8], null, 0xd2511f53, v0, 0
	v_add_f32_e32 v0, v3, v15
	s_delay_alu instid0(VALU_DEP_4) | instskip(NEXT) | instid1(VALU_DEP_3)
	v_xor3_b32 v2, v30, v6, v4
	v_xor3_b32 v6, v33, v8, v1
	s_delay_alu instid0(VALU_DEP_3) | instskip(NEXT) | instid1(VALU_DEP_3)
	v_add_f32_e32 v0, v10, v0
	v_mad_u64_u32 v[3:4], null, 0xd2511f53, v2, 0
	s_delay_alu instid0(VALU_DEP_3) | instskip(NEXT) | instid1(VALU_DEP_3)
	v_mad_u64_u32 v[1:2], null, 0xcd9e8d57, v6, 0
	v_cndmask_b32_e64 v0, v0, -v9, vcc_lo
	v_cmp_nlt_f32_e32 vcc_lo, 1.0, v9
	s_delay_alu instid0(VALU_DEP_2) | instskip(SKIP_1) | instid1(VALU_DEP_2)
	v_cndmask_b32_e32 v0, 0x7fc00000, v0, vcc_lo
	v_cmp_neq_f32_e32 vcc_lo, 1.0, v9
	v_cndmask_b32_e32 v6, 0xff800000, v0, vcc_lo
	v_xor3_b32 v0, v2, v5, v18
	v_xor3_b32 v2, v4, v7, v19
	s_delay_alu instid0(VALU_DEP_3)
	v_cndmask_b32_e64 v39, v6, -v9, s20
	s_branch .LBB35_9
.LBB35_7:                               ;   in Loop: Header=BB35_9 Depth=1
	v_cvt_f32_u32_e32 v1, v3
	s_delay_alu instid0(VALU_DEP_1) | instskip(NEXT) | instid1(VALU_DEP_1)
	v_fmaak_f32 v1, 0x2f800000, v1, 0x2f800000
	v_cmp_gt_f32_e32 vcc_lo, 0x800000, v1
	v_cndmask_b32_e64 v2, 1.0, 0x4f800000, vcc_lo
	s_delay_alu instid0(VALU_DEP_1) | instskip(NEXT) | instid1(VALU_DEP_1)
	v_mul_f32_e32 v1, v1, v2
	v_log_f32_e32 v1, v1
	s_waitcnt_depctr 0xfff
	v_mul_f32_e32 v2, 0x3f317217, v1
	s_delay_alu instid0(VALU_DEP_1) | instskip(NEXT) | instid1(VALU_DEP_1)
	v_fma_f32 v3, 0x3f317217, v1, -v2
	v_fmac_f32_e32 v3, 0x3377d1cf, v1
	s_delay_alu instid0(VALU_DEP_1) | instskip(SKIP_2) | instid1(VALU_DEP_3)
	v_add_f32_e32 v2, v2, v3
	v_cndmask_b32_e64 v3, 0, 0x41b17218, vcc_lo
	v_cmp_gt_f32_e64 vcc_lo, 0x7f800000, |v1|
	v_cndmask_b32_e32 v1, v1, v2, vcc_lo
	s_delay_alu instid0(VALU_DEP_1) | instskip(NEXT) | instid1(VALU_DEP_1)
	v_sub_f32_e32 v1, v1, v3
	v_div_scale_f32 v2, null, v39, v39, v1
	s_delay_alu instid0(VALU_DEP_1) | instskip(SKIP_2) | instid1(VALU_DEP_1)
	v_rcp_f32_e32 v3, v2
	s_waitcnt_depctr 0xfff
	v_fma_f32 v7, -v2, v3, 1.0
	v_fmac_f32_e32 v3, v7, v3
	v_div_scale_f32 v7, vcc_lo, v1, v39, v1
	s_delay_alu instid0(VALU_DEP_1) | instskip(NEXT) | instid1(VALU_DEP_1)
	v_mul_f32_e32 v8, v7, v3
	v_fma_f32 v9, -v2, v8, v7
	s_delay_alu instid0(VALU_DEP_1) | instskip(NEXT) | instid1(VALU_DEP_1)
	v_fmac_f32_e32 v8, v9, v3
	v_fma_f32 v2, -v2, v8, v7
	s_delay_alu instid0(VALU_DEP_1) | instskip(NEXT) | instid1(VALU_DEP_1)
	v_div_fmas_f32 v2, v2, v3, v8
	v_div_fixup_f32 v1, v2, v39, v1
	s_delay_alu instid0(VALU_DEP_1) | instskip(NEXT) | instid1(VALU_DEP_1)
	v_ceil_f32_e32 v1, v1
	v_bfe_u32 v2, v1, 16, 1
	v_cmp_o_f32_e32 vcc_lo, v1, v1
	s_delay_alu instid0(VALU_DEP_2) | instskip(NEXT) | instid1(VALU_DEP_1)
	v_add3_u32 v2, v1, v2, 0x7fff
	v_lshrrev_b32_e32 v2, 16, v2
	s_delay_alu instid0(VALU_DEP_1)
	v_cndmask_b32_e32 v1, 0x7fc0, v2, vcc_lo
	global_store_b16 v0, v1, s[12:13]
.LBB35_8:                               ;   in Loop: Header=BB35_9 Depth=1
	s_or_b32 exec_lo, exec_lo, s35
	v_add_co_u32 v13, vcc_lo, v13, s25
	v_add_co_ci_u32_e32 v14, vcc_lo, 0, v14, vcc_lo
	v_mov_b32_e32 v7, v15
	v_dual_mov_b32 v0, v4 :: v_dual_mov_b32 v1, v5
	s_delay_alu instid0(VALU_DEP_3) | instskip(NEXT) | instid1(VALU_DEP_3)
	v_cmp_le_i64_e32 vcc_lo, s[2:3], v[13:14]
	v_dual_mov_b32 v2, v6 :: v_dual_mov_b32 v3, v7
	s_waitcnt lgkmcnt(0)
	s_waitcnt_vscnt null, 0x0
	s_barrier
	buffer_gl0_inv
	s_or_b32 s26, vcc_lo, s26
	s_delay_alu instid0(SALU_CYCLE_1)
	s_and_not1_b32 exec_lo, exec_lo, s26
	s_cbranch_execz .LBB35_78
.LBB35_9:                               ; =>This Loop Header: Depth=1
                                        ;     Child Loop BB35_24 Depth 2
                                        ;     Child Loop BB35_29 Depth 2
	;; [unrolled: 1-line block ×8, first 2 shown]
	v_add_co_u32 v24, vcc_lo, v24, 1
	s_delay_alu instid0(VALU_DEP_1) | instskip(SKIP_2) | instid1(VALU_DEP_1)
	v_cndmask_b32_e64 v4, 0, 1, vcc_lo
	v_add_co_ci_u32_e32 v25, vcc_lo, 0, v25, vcc_lo
	s_mov_b32 s20, exec_lo
	v_cmp_eq_u32_e32 vcc_lo, 0, v25
	s_delay_alu instid0(VALU_DEP_3) | instskip(NEXT) | instid1(VALU_DEP_1)
	v_cndmask_b32_e32 v4, 0, v4, vcc_lo
	v_add_nc_u32_e32 v31, v4, v31
	s_delay_alu instid0(VALU_DEP_1) | instskip(SKIP_2) | instid1(VALU_DEP_2)
	v_cmp_eq_u32_e32 vcc_lo, 0, v31
	v_cndmask_b32_e32 v4, 0, v4, vcc_lo
	v_mad_u64_u32 v[6:7], null, 0xcd9e8d57, v31, 0
	v_add_nc_u32_e32 v40, v4, v40
	v_mad_u64_u32 v[4:5], null, 0xd2511f53, v24, 0
	s_delay_alu instid0(VALU_DEP_3) | instskip(NEXT) | instid1(VALU_DEP_2)
	v_xor3_b32 v9, v7, v11, v25
	v_xor_b32_e32 v5, v5, v12
	s_delay_alu instid0(VALU_DEP_2) | instskip(NEXT) | instid1(VALU_DEP_2)
	v_mad_u64_u32 v[7:8], null, 0xd2511f53, v9, 0
	v_xor_b32_e32 v5, v40, v5
	s_delay_alu instid0(VALU_DEP_2) | instskip(NEXT) | instid1(VALU_DEP_2)
	v_xor3_b32 v8, v29, v8, v4
	v_mad_u64_u32 v[9:10], null, 0xcd9e8d57, v5, 0
	s_delay_alu instid0(VALU_DEP_2) | instskip(NEXT) | instid1(VALU_DEP_2)
	v_mad_u64_u32 v[4:5], null, 0xcd9e8d57, v8, 0
	v_xor3_b32 v6, v23, v10, v6
	s_delay_alu instid0(VALU_DEP_2) | instskip(NEXT) | instid1(VALU_DEP_2)
	v_xor3_b32 v8, v26, v5, v9
	v_mad_u64_u32 v[15:16], null, 0xd2511f53, v6, 0
	s_delay_alu instid0(VALU_DEP_2) | instskip(NEXT) | instid1(VALU_DEP_2)
	v_mad_u64_u32 v[5:6], null, 0xd2511f53, v8, 0
	v_xor3_b32 v9, v32, v16, v7
	s_delay_alu instid0(VALU_DEP_2) | instskip(NEXT) | instid1(VALU_DEP_2)
	v_xor3_b32 v6, v34, v6, v15
	v_mad_u64_u32 v[7:8], null, 0xcd9e8d57, v9, 0
	s_delay_alu instid0(VALU_DEP_1) | instskip(NEXT) | instid1(VALU_DEP_3)
	v_xor3_b32 v4, v22, v8, v4
	v_mad_u64_u32 v[8:9], null, 0xcd9e8d57, v6, 0
	s_delay_alu instid0(VALU_DEP_2) | instskip(NEXT) | instid1(VALU_DEP_2)
	v_mad_u64_u32 v[15:16], null, 0xd2511f53, v4, 0
	v_xor3_b32 v6, v27, v9, v7
	s_delay_alu instid0(VALU_DEP_2) | instskip(NEXT) | instid1(VALU_DEP_2)
	v_xor3_b32 v9, v36, v16, v5
	v_mad_u64_u32 v[4:5], null, 0xd2511f53, v6, 0
	s_delay_alu instid0(VALU_DEP_2) | instskip(NEXT) | instid1(VALU_DEP_2)
	v_mad_u64_u32 v[6:7], null, 0xcd9e8d57, v9, 0
	v_xor3_b32 v5, v37, v5, v15
	s_delay_alu instid0(VALU_DEP_2) | instskip(NEXT) | instid1(VALU_DEP_2)
	;; [unrolled: 6-line block ×6, first 2 shown]
	v_xor3_b32 v4, v6, v7, v18
	v_mov_b32_e32 v6, v10
	v_cmpx_lt_i32_e32 1, v17
	s_xor_b32 s20, exec_lo, s20
	s_cbranch_execnz .LBB35_12
; %bb.10:                               ;   in Loop: Header=BB35_9 Depth=1
	s_and_not1_saveexec_b32 s20, s20
	s_cbranch_execnz .LBB35_17
.LBB35_11:                              ;   in Loop: Header=BB35_9 Depth=1
	s_or_b32 exec_lo, exec_lo, s20
	s_delay_alu instid0(SALU_CYCLE_1)
	s_mov_b32 s35, exec_lo
	v_cmpx_gt_i64_e64 s[16:17], v[13:14]
	s_cbranch_execnz .LBB35_20
	s_branch .LBB35_34
.LBB35_12:                              ;   in Loop: Header=BB35_9 Depth=1
	s_mov_b32 s21, exec_lo
	v_cmpx_lt_i32_e32 2, v17
	s_xor_b32 s21, exec_lo, s21
; %bb.13:                               ;   in Loop: Header=BB35_9 Depth=1
	v_dual_mov_b32 v7, v3 :: v_dual_mov_b32 v8, v4
	v_mov_b32_e32 v9, v5
	s_delay_alu instid0(VALU_DEP_2) | instskip(NEXT) | instid1(VALU_DEP_2)
	v_dual_mov_b32 v0, v7 :: v_dual_mov_b32 v1, v8
	v_dual_mov_b32 v2, v9 :: v_dual_mov_b32 v3, v10
; %bb.14:                               ;   in Loop: Header=BB35_9 Depth=1
	s_and_not1_saveexec_b32 s21, s21
; %bb.15:                               ;   in Loop: Header=BB35_9 Depth=1
	s_delay_alu instid0(VALU_DEP_1)
	v_dual_mov_b32 v0, v2 :: v_dual_mov_b32 v1, v3
	v_dual_mov_b32 v2, v4 :: v_dual_mov_b32 v3, v5
; %bb.16:                               ;   in Loop: Header=BB35_9 Depth=1
	s_or_b32 exec_lo, exec_lo, s21
	s_and_not1_saveexec_b32 s20, s20
	s_cbranch_execz .LBB35_11
.LBB35_17:                              ;   in Loop: Header=BB35_9 Depth=1
	s_mov_b32 s21, exec_lo
	v_cmpx_eq_u32_e32 1, v17
; %bb.18:                               ;   in Loop: Header=BB35_9 Depth=1
	v_dual_mov_b32 v0, v1 :: v_dual_mov_b32 v1, v2
	v_dual_mov_b32 v2, v3 :: v_dual_mov_b32 v3, v4
; %bb.19:                               ;   in Loop: Header=BB35_9 Depth=1
	s_or_b32 exec_lo, exec_lo, s21
	s_delay_alu instid0(SALU_CYCLE_1) | instskip(NEXT) | instid1(SALU_CYCLE_1)
	s_or_b32 exec_lo, exec_lo, s20
	s_mov_b32 s35, exec_lo
	v_cmpx_gt_i64_e64 s[16:17], v[13:14]
	s_cbranch_execz .LBB35_34
.LBB35_20:                              ;   in Loop: Header=BB35_9 Depth=1
	s_and_not1_b32 vcc_lo, exec_lo, s11
	s_cbranch_vccnz .LBB35_26
; %bb.21:                               ;   in Loop: Header=BB35_9 Depth=1
	v_mov_b32_e32 v7, 0
	s_and_not1_b32 vcc_lo, exec_lo, s27
	s_cbranch_vccnz .LBB35_30
; %bb.22:                               ;   in Loop: Header=BB35_9 Depth=1
	s_and_not1_b32 vcc_lo, exec_lo, s30
	s_mov_b32 s20, 0
	s_cbranch_vccnz .LBB35_27
; %bb.23:                               ;   in Loop: Header=BB35_9 Depth=1
	v_dual_mov_b32 v7, 0 :: v_dual_mov_b32 v8, v13
	s_mov_b32 s36, 0
	s_mov_b64 s[20:21], s[18:19]
	s_mov_b64 s[22:23], s[0:1]
.LBB35_24:                              ;   Parent Loop BB35_9 Depth=1
                                        ; =>  This Inner Loop Header: Depth=2
	s_clause 0x1
	s_load_b256 s[40:47], s[20:21], 0x4
	s_load_b128 s[48:51], s[20:21], 0x24
	s_load_b128 s[52:55], s[22:23], 0x0
	s_add_u32 s20, s20, 48
	s_addc_u32 s21, s21, 0
	s_add_i32 s36, s36, 4
	s_add_u32 s22, s22, 16
	s_addc_u32 s23, s23, 0
	s_cmp_lg_u32 s31, s36
	s_waitcnt lgkmcnt(0)
	v_mul_hi_u32 v9, s41, v8
	s_delay_alu instid0(VALU_DEP_1) | instskip(NEXT) | instid1(VALU_DEP_1)
	v_add_nc_u32_e32 v9, v8, v9
	v_lshrrev_b32_e32 v9, s42, v9
	s_delay_alu instid0(VALU_DEP_1) | instskip(SKIP_1) | instid1(VALU_DEP_2)
	v_mul_hi_u32 v10, s44, v9
	v_mul_lo_u32 v42, v9, s40
	v_add_nc_u32_e32 v10, v9, v10
	s_delay_alu instid0(VALU_DEP_2) | instskip(NEXT) | instid1(VALU_DEP_2)
	v_sub_nc_u32_e32 v42, v8, v42
	v_lshrrev_b32_e32 v10, s45, v10
	s_delay_alu instid0(VALU_DEP_2) | instskip(NEXT) | instid1(VALU_DEP_2)
	v_mul_lo_u32 v42, v42, s52
	v_mul_hi_u32 v16, s47, v10
	v_mul_lo_u32 v43, v10, s43
	s_delay_alu instid0(VALU_DEP_2) | instskip(NEXT) | instid1(VALU_DEP_2)
	v_add_nc_u32_e32 v16, v10, v16
	v_sub_nc_u32_e32 v9, v9, v43
	s_delay_alu instid0(VALU_DEP_2) | instskip(NEXT) | instid1(VALU_DEP_2)
	v_lshrrev_b32_e32 v16, s48, v16
	v_mul_lo_u32 v9, v9, s53
	s_delay_alu instid0(VALU_DEP_2) | instskip(NEXT) | instid1(VALU_DEP_2)
	v_mul_hi_u32 v41, s50, v16
	v_add3_u32 v7, v42, v7, v9
	s_delay_alu instid0(VALU_DEP_2) | instskip(NEXT) | instid1(VALU_DEP_1)
	v_add_nc_u32_e32 v41, v16, v41
	v_lshrrev_b32_e32 v8, s51, v41
	v_mul_lo_u32 v41, v16, s46
	s_delay_alu instid0(VALU_DEP_2) | instskip(NEXT) | instid1(VALU_DEP_2)
	v_mul_lo_u32 v44, v8, s49
	v_sub_nc_u32_e32 v10, v10, v41
	s_delay_alu instid0(VALU_DEP_2) | instskip(NEXT) | instid1(VALU_DEP_2)
	v_sub_nc_u32_e32 v16, v16, v44
	v_mul_lo_u32 v10, v10, s54
	s_delay_alu instid0(VALU_DEP_2) | instskip(NEXT) | instid1(VALU_DEP_1)
	v_mul_lo_u32 v16, v16, s55
	v_add3_u32 v7, v10, v7, v16
	s_cbranch_scc1 .LBB35_24
; %bb.25:                               ;   in Loop: Header=BB35_9 Depth=1
	s_mov_b32 s20, s31
	s_and_not1_b32 vcc_lo, exec_lo, s34
	s_cbranch_vccz .LBB35_28
	s_branch .LBB35_30
.LBB35_26:                              ;   in Loop: Header=BB35_9 Depth=1
                                        ; implicit-def: $vgpr7
	s_branch .LBB35_31
.LBB35_27:                              ;   in Loop: Header=BB35_9 Depth=1
	v_mov_b32_e32 v8, v13
	s_and_not1_b32 vcc_lo, exec_lo, s34
	s_cbranch_vccnz .LBB35_30
.LBB35_28:                              ;   in Loop: Header=BB35_9 Depth=1
	s_lshl_b32 s21, s20, 2
	s_mul_i32 s22, s20, 12
	s_add_u32 s20, s0, s21
	s_addc_u32 s21, s1, 0
	s_add_u32 s22, s18, s22
	s_addc_u32 s23, s19, 0
	s_mov_b32 s36, s29
	.p2align	6
.LBB35_29:                              ;   Parent Loop BB35_9 Depth=1
                                        ; =>  This Inner Loop Header: Depth=2
	s_clause 0x1
	s_load_b64 s[38:39], s[22:23], 0x4
	s_load_b32 s37, s[22:23], 0xc
	s_add_u32 s22, s22, 12
	s_addc_u32 s23, s23, 0
	s_waitcnt lgkmcnt(0)
	v_mul_hi_u32 v9, s39, v8
	s_load_b32 s39, s[20:21], 0x0
	s_add_u32 s20, s20, 4
	s_addc_u32 s21, s21, 0
	s_add_i32 s36, s36, -1
	s_delay_alu instid0(SALU_CYCLE_1) | instskip(NEXT) | instid1(VALU_DEP_1)
	s_cmp_lg_u32 s36, 0
	v_add_nc_u32_e32 v9, v8, v9
	s_delay_alu instid0(VALU_DEP_1) | instskip(NEXT) | instid1(VALU_DEP_1)
	v_lshrrev_b32_e32 v16, s37, v9
	v_mul_lo_u32 v9, v16, s38
	s_delay_alu instid0(VALU_DEP_1) | instskip(SKIP_1) | instid1(VALU_DEP_1)
	v_sub_nc_u32_e32 v8, v8, v9
	s_waitcnt lgkmcnt(0)
	v_mad_u64_u32 v[9:10], null, v8, s39, v[7:8]
	s_delay_alu instid0(VALU_DEP_1)
	v_dual_mov_b32 v8, v16 :: v_dual_mov_b32 v7, v9
	s_cbranch_scc1 .LBB35_29
.LBB35_30:                              ;   in Loop: Header=BB35_9 Depth=1
	s_cbranch_execnz .LBB35_33
.LBB35_31:                              ;   in Loop: Header=BB35_9 Depth=1
	v_mul_hi_u32 v7, v13, s6
	s_and_not1_b32 vcc_lo, exec_lo, s4
	s_delay_alu instid0(VALU_DEP_1) | instskip(NEXT) | instid1(VALU_DEP_1)
	v_add_nc_u32_e32 v7, v7, v13
	v_lshrrev_b32_e32 v8, s7, v7
	s_delay_alu instid0(VALU_DEP_1) | instskip(NEXT) | instid1(VALU_DEP_1)
	v_mul_lo_u32 v7, v8, s5
	v_sub_nc_u32_e32 v7, v13, v7
	s_waitcnt lgkmcnt(0)
	s_delay_alu instid0(VALU_DEP_1)
	v_mul_lo_u32 v7, v7, s14
	s_cbranch_vccnz .LBB35_33
; %bb.32:                               ;   in Loop: Header=BB35_9 Depth=1
	v_mul_hi_u32 v9, s9, v8
	s_delay_alu instid0(VALU_DEP_1) | instskip(NEXT) | instid1(VALU_DEP_1)
	v_add_nc_u32_e32 v9, v8, v9
	v_lshrrev_b32_e32 v9, s10, v9
	s_delay_alu instid0(VALU_DEP_1) | instskip(NEXT) | instid1(VALU_DEP_1)
	v_mul_lo_u32 v9, v9, s8
	v_sub_nc_u32_e32 v10, v8, v9
	s_delay_alu instid0(VALU_DEP_1) | instskip(NEXT) | instid1(VALU_DEP_1)
	v_mad_u64_u32 v[8:9], null, v10, s15, v[7:8]
	v_mov_b32_e32 v7, v8
.LBB35_33:                              ;   in Loop: Header=BB35_9 Depth=1
	v_cvt_f32_u32_e32 v0, v0
	s_delay_alu instid0(VALU_DEP_1) | instskip(NEXT) | instid1(VALU_DEP_1)
	v_fmaak_f32 v0, 0x2f800000, v0, 0x2f800000
	v_cmp_gt_f32_e32 vcc_lo, 0x800000, v0
	v_cndmask_b32_e64 v8, 1.0, 0x4f800000, vcc_lo
	s_delay_alu instid0(VALU_DEP_1) | instskip(NEXT) | instid1(VALU_DEP_1)
	v_mul_f32_e32 v0, v0, v8
	v_log_f32_e32 v0, v0
	s_waitcnt_depctr 0xfff
	v_mul_f32_e32 v8, 0x3f317217, v0
	s_delay_alu instid0(VALU_DEP_1) | instskip(NEXT) | instid1(VALU_DEP_1)
	v_fma_f32 v9, 0x3f317217, v0, -v8
	v_fmac_f32_e32 v9, 0x3377d1cf, v0
	s_delay_alu instid0(VALU_DEP_1) | instskip(SKIP_2) | instid1(VALU_DEP_3)
	v_add_f32_e32 v8, v8, v9
	v_cndmask_b32_e64 v9, 0, 0x41b17218, vcc_lo
	v_cmp_gt_f32_e64 vcc_lo, 0x7f800000, |v0|
	v_cndmask_b32_e32 v0, v0, v8, vcc_lo
	s_delay_alu instid0(VALU_DEP_1) | instskip(NEXT) | instid1(VALU_DEP_1)
	v_sub_f32_e32 v0, v0, v9
	v_div_scale_f32 v8, null, v39, v39, v0
	s_delay_alu instid0(VALU_DEP_1) | instskip(SKIP_2) | instid1(VALU_DEP_1)
	v_rcp_f32_e32 v9, v8
	s_waitcnt_depctr 0xfff
	v_fma_f32 v10, -v8, v9, 1.0
	v_fmac_f32_e32 v9, v10, v9
	v_div_scale_f32 v10, vcc_lo, v0, v39, v0
	s_delay_alu instid0(VALU_DEP_1) | instskip(NEXT) | instid1(VALU_DEP_1)
	v_mul_f32_e32 v16, v10, v9
	v_fma_f32 v41, -v8, v16, v10
	s_delay_alu instid0(VALU_DEP_1) | instskip(NEXT) | instid1(VALU_DEP_1)
	v_fmac_f32_e32 v16, v41, v9
	v_fma_f32 v8, -v8, v16, v10
	s_delay_alu instid0(VALU_DEP_1) | instskip(NEXT) | instid1(VALU_DEP_1)
	v_div_fmas_f32 v8, v8, v9, v16
	v_div_fixup_f32 v0, v8, v39, v0
	s_delay_alu instid0(VALU_DEP_1) | instskip(NEXT) | instid1(VALU_DEP_1)
	v_ceil_f32_e32 v0, v0
	v_bfe_u32 v8, v0, 16, 1
	v_cmp_o_f32_e32 vcc_lo, v0, v0
	s_delay_alu instid0(VALU_DEP_2) | instskip(NEXT) | instid1(VALU_DEP_1)
	v_add3_u32 v8, v0, v8, 0x7fff
	v_lshrrev_b32_e32 v8, 16, v8
	s_delay_alu instid0(VALU_DEP_1)
	v_cndmask_b32_e32 v0, 0x7fc0, v8, vcc_lo
	global_store_b16 v7, v0, s[12:13]
.LBB35_34:                              ;   in Loop: Header=BB35_9 Depth=1
	s_or_b32 exec_lo, exec_lo, s35
	v_add_co_u32 v7, vcc_lo, v13, s24
	v_add_co_ci_u32_e32 v8, vcc_lo, 0, v14, vcc_lo
	s_mov_b32 s35, exec_lo
	s_delay_alu instid0(VALU_DEP_1)
	v_cmpx_gt_i64_e64 s[16:17], v[7:8]
	s_cbranch_execz .LBB35_49
; %bb.35:                               ;   in Loop: Header=BB35_9 Depth=1
	s_and_not1_b32 vcc_lo, exec_lo, s11
	s_cbranch_vccnz .LBB35_41
; %bb.36:                               ;   in Loop: Header=BB35_9 Depth=1
	v_mov_b32_e32 v0, 0
	s_and_not1_b32 vcc_lo, exec_lo, s27
	s_cbranch_vccnz .LBB35_45
; %bb.37:                               ;   in Loop: Header=BB35_9 Depth=1
	s_and_not1_b32 vcc_lo, exec_lo, s30
	s_mov_b32 s20, 0
	s_cbranch_vccnz .LBB35_42
; %bb.38:                               ;   in Loop: Header=BB35_9 Depth=1
	v_mov_b32_e32 v0, 0
	v_mov_b32_e32 v8, v7
	s_mov_b32 s36, 0
	s_mov_b64 s[20:21], s[18:19]
	s_mov_b64 s[22:23], s[0:1]
.LBB35_39:                              ;   Parent Loop BB35_9 Depth=1
                                        ; =>  This Inner Loop Header: Depth=2
	s_clause 0x1
	s_load_b256 s[40:47], s[20:21], 0x4
	s_load_b128 s[48:51], s[20:21], 0x24
	s_load_b128 s[52:55], s[22:23], 0x0
	s_add_u32 s20, s20, 48
	s_addc_u32 s21, s21, 0
	s_add_i32 s36, s36, 4
	s_add_u32 s22, s22, 16
	s_addc_u32 s23, s23, 0
	s_cmp_eq_u32 s31, s36
	s_waitcnt lgkmcnt(0)
	v_mul_hi_u32 v9, s41, v8
	s_delay_alu instid0(VALU_DEP_1) | instskip(NEXT) | instid1(VALU_DEP_1)
	v_add_nc_u32_e32 v9, v8, v9
	v_lshrrev_b32_e32 v9, s42, v9
	s_delay_alu instid0(VALU_DEP_1) | instskip(SKIP_1) | instid1(VALU_DEP_2)
	v_mul_hi_u32 v10, s44, v9
	v_mul_lo_u32 v42, v9, s40
	v_add_nc_u32_e32 v10, v9, v10
	s_delay_alu instid0(VALU_DEP_2) | instskip(NEXT) | instid1(VALU_DEP_2)
	v_sub_nc_u32_e32 v42, v8, v42
	v_lshrrev_b32_e32 v10, s45, v10
	s_delay_alu instid0(VALU_DEP_2) | instskip(NEXT) | instid1(VALU_DEP_2)
	v_mul_lo_u32 v42, v42, s52
	v_mul_hi_u32 v16, s47, v10
	v_mul_lo_u32 v43, v10, s43
	s_delay_alu instid0(VALU_DEP_2) | instskip(NEXT) | instid1(VALU_DEP_2)
	v_add_nc_u32_e32 v16, v10, v16
	v_sub_nc_u32_e32 v9, v9, v43
	s_delay_alu instid0(VALU_DEP_2) | instskip(NEXT) | instid1(VALU_DEP_2)
	v_lshrrev_b32_e32 v16, s48, v16
	v_mul_lo_u32 v9, v9, s53
	s_delay_alu instid0(VALU_DEP_2) | instskip(NEXT) | instid1(VALU_DEP_2)
	v_mul_hi_u32 v41, s50, v16
	v_add3_u32 v0, v42, v0, v9
	s_delay_alu instid0(VALU_DEP_2) | instskip(NEXT) | instid1(VALU_DEP_1)
	v_add_nc_u32_e32 v41, v16, v41
	v_lshrrev_b32_e32 v8, s51, v41
	v_mul_lo_u32 v41, v16, s46
	s_delay_alu instid0(VALU_DEP_2) | instskip(NEXT) | instid1(VALU_DEP_2)
	v_mul_lo_u32 v44, v8, s49
	v_sub_nc_u32_e32 v10, v10, v41
	s_delay_alu instid0(VALU_DEP_2) | instskip(NEXT) | instid1(VALU_DEP_2)
	v_sub_nc_u32_e32 v16, v16, v44
	v_mul_lo_u32 v10, v10, s54
	s_delay_alu instid0(VALU_DEP_2) | instskip(NEXT) | instid1(VALU_DEP_1)
	v_mul_lo_u32 v16, v16, s55
	v_add3_u32 v0, v10, v0, v16
	s_cbranch_scc0 .LBB35_39
; %bb.40:                               ;   in Loop: Header=BB35_9 Depth=1
	s_mov_b32 s20, s31
	s_and_not1_b32 vcc_lo, exec_lo, s34
	s_cbranch_vccz .LBB35_43
	s_branch .LBB35_45
.LBB35_41:                              ;   in Loop: Header=BB35_9 Depth=1
                                        ; implicit-def: $vgpr0
	s_branch .LBB35_46
.LBB35_42:                              ;   in Loop: Header=BB35_9 Depth=1
	v_mov_b32_e32 v8, v7
	s_and_not1_b32 vcc_lo, exec_lo, s34
	s_cbranch_vccnz .LBB35_45
.LBB35_43:                              ;   in Loop: Header=BB35_9 Depth=1
	s_lshl_b32 s21, s20, 2
	s_mul_i32 s22, s20, 12
	s_add_u32 s20, s0, s21
	s_addc_u32 s21, s1, 0
	s_add_u32 s22, s18, s22
	s_addc_u32 s23, s19, 0
	s_mov_b32 s36, s29
	.p2align	6
.LBB35_44:                              ;   Parent Loop BB35_9 Depth=1
                                        ; =>  This Inner Loop Header: Depth=2
	s_clause 0x1
	s_load_b64 s[38:39], s[22:23], 0x4
	s_load_b32 s37, s[22:23], 0xc
	s_add_u32 s22, s22, 12
	s_addc_u32 s23, s23, 0
	s_waitcnt lgkmcnt(0)
	v_mul_hi_u32 v9, s39, v8
	s_load_b32 s39, s[20:21], 0x0
	s_add_u32 s20, s20, 4
	s_addc_u32 s21, s21, 0
	s_add_i32 s36, s36, -1
	s_delay_alu instid0(SALU_CYCLE_1) | instskip(NEXT) | instid1(VALU_DEP_1)
	s_cmp_lg_u32 s36, 0
	v_add_nc_u32_e32 v9, v8, v9
	s_delay_alu instid0(VALU_DEP_1) | instskip(NEXT) | instid1(VALU_DEP_1)
	v_lshrrev_b32_e32 v16, s37, v9
	v_mul_lo_u32 v9, v16, s38
	s_delay_alu instid0(VALU_DEP_1) | instskip(SKIP_1) | instid1(VALU_DEP_1)
	v_sub_nc_u32_e32 v8, v8, v9
	s_waitcnt lgkmcnt(0)
	v_mad_u64_u32 v[9:10], null, v8, s39, v[0:1]
	v_mov_b32_e32 v8, v16
	s_delay_alu instid0(VALU_DEP_2)
	v_mov_b32_e32 v0, v9
	s_cbranch_scc1 .LBB35_44
.LBB35_45:                              ;   in Loop: Header=BB35_9 Depth=1
	s_cbranch_execnz .LBB35_48
.LBB35_46:                              ;   in Loop: Header=BB35_9 Depth=1
	v_mul_hi_u32 v0, v7, s6
	s_and_not1_b32 vcc_lo, exec_lo, s4
	s_delay_alu instid0(VALU_DEP_1) | instskip(NEXT) | instid1(VALU_DEP_1)
	v_add_nc_u32_e32 v0, v0, v7
	v_lshrrev_b32_e32 v8, s7, v0
	s_delay_alu instid0(VALU_DEP_1) | instskip(NEXT) | instid1(VALU_DEP_1)
	v_mul_lo_u32 v0, v8, s5
	v_sub_nc_u32_e32 v0, v7, v0
	s_waitcnt lgkmcnt(0)
	s_delay_alu instid0(VALU_DEP_1)
	v_mul_lo_u32 v0, v0, s14
	s_cbranch_vccnz .LBB35_48
; %bb.47:                               ;   in Loop: Header=BB35_9 Depth=1
	v_mul_hi_u32 v7, s9, v8
	s_delay_alu instid0(VALU_DEP_1) | instskip(NEXT) | instid1(VALU_DEP_1)
	v_add_nc_u32_e32 v7, v8, v7
	v_lshrrev_b32_e32 v7, s10, v7
	s_delay_alu instid0(VALU_DEP_1) | instskip(NEXT) | instid1(VALU_DEP_1)
	v_mul_lo_u32 v7, v7, s8
	v_sub_nc_u32_e32 v9, v8, v7
	s_delay_alu instid0(VALU_DEP_1) | instskip(NEXT) | instid1(VALU_DEP_1)
	v_mad_u64_u32 v[7:8], null, v9, s15, v[0:1]
	v_mov_b32_e32 v0, v7
.LBB35_48:                              ;   in Loop: Header=BB35_9 Depth=1
	v_cvt_f32_u32_e32 v1, v1
	s_delay_alu instid0(VALU_DEP_1) | instskip(NEXT) | instid1(VALU_DEP_1)
	v_fmaak_f32 v1, 0x2f800000, v1, 0x2f800000
	v_cmp_gt_f32_e32 vcc_lo, 0x800000, v1
	v_cndmask_b32_e64 v7, 1.0, 0x4f800000, vcc_lo
	s_delay_alu instid0(VALU_DEP_1) | instskip(NEXT) | instid1(VALU_DEP_1)
	v_mul_f32_e32 v1, v1, v7
	v_log_f32_e32 v1, v1
	s_waitcnt_depctr 0xfff
	v_mul_f32_e32 v7, 0x3f317217, v1
	s_delay_alu instid0(VALU_DEP_1) | instskip(NEXT) | instid1(VALU_DEP_1)
	v_fma_f32 v8, 0x3f317217, v1, -v7
	v_fmac_f32_e32 v8, 0x3377d1cf, v1
	s_delay_alu instid0(VALU_DEP_1) | instskip(SKIP_2) | instid1(VALU_DEP_3)
	v_add_f32_e32 v7, v7, v8
	v_cndmask_b32_e64 v8, 0, 0x41b17218, vcc_lo
	v_cmp_gt_f32_e64 vcc_lo, 0x7f800000, |v1|
	v_cndmask_b32_e32 v1, v1, v7, vcc_lo
	s_delay_alu instid0(VALU_DEP_1) | instskip(NEXT) | instid1(VALU_DEP_1)
	v_sub_f32_e32 v1, v1, v8
	v_div_scale_f32 v7, null, v39, v39, v1
	s_delay_alu instid0(VALU_DEP_1) | instskip(SKIP_2) | instid1(VALU_DEP_1)
	v_rcp_f32_e32 v8, v7
	s_waitcnt_depctr 0xfff
	v_fma_f32 v9, -v7, v8, 1.0
	v_fmac_f32_e32 v8, v9, v8
	v_div_scale_f32 v9, vcc_lo, v1, v39, v1
	s_delay_alu instid0(VALU_DEP_1) | instskip(NEXT) | instid1(VALU_DEP_1)
	v_mul_f32_e32 v10, v9, v8
	v_fma_f32 v16, -v7, v10, v9
	s_delay_alu instid0(VALU_DEP_1) | instskip(NEXT) | instid1(VALU_DEP_1)
	v_fmac_f32_e32 v10, v16, v8
	v_fma_f32 v7, -v7, v10, v9
	s_delay_alu instid0(VALU_DEP_1) | instskip(NEXT) | instid1(VALU_DEP_1)
	v_div_fmas_f32 v7, v7, v8, v10
	v_div_fixup_f32 v1, v7, v39, v1
	s_delay_alu instid0(VALU_DEP_1) | instskip(NEXT) | instid1(VALU_DEP_1)
	v_ceil_f32_e32 v1, v1
	v_bfe_u32 v7, v1, 16, 1
	v_cmp_o_f32_e32 vcc_lo, v1, v1
	s_delay_alu instid0(VALU_DEP_2) | instskip(NEXT) | instid1(VALU_DEP_1)
	v_add3_u32 v7, v1, v7, 0x7fff
	v_lshrrev_b32_e32 v7, 16, v7
	s_delay_alu instid0(VALU_DEP_1)
	v_cndmask_b32_e32 v1, 0x7fc0, v7, vcc_lo
	global_store_b16 v0, v1, s[12:13]
.LBB35_49:                              ;   in Loop: Header=BB35_9 Depth=1
	s_or_b32 exec_lo, exec_lo, s35
	v_add_co_u32 v7, vcc_lo, v13, s28
	v_add_co_ci_u32_e32 v8, vcc_lo, 0, v14, vcc_lo
	s_mov_b32 s35, exec_lo
	s_delay_alu instid0(VALU_DEP_1)
	v_cmpx_gt_i64_e64 s[16:17], v[7:8]
	s_cbranch_execz .LBB35_64
; %bb.50:                               ;   in Loop: Header=BB35_9 Depth=1
	s_and_not1_b32 vcc_lo, exec_lo, s11
	s_cbranch_vccnz .LBB35_56
; %bb.51:                               ;   in Loop: Header=BB35_9 Depth=1
	v_mov_b32_e32 v0, 0
	s_and_not1_b32 vcc_lo, exec_lo, s27
	s_cbranch_vccnz .LBB35_60
; %bb.52:                               ;   in Loop: Header=BB35_9 Depth=1
	s_and_not1_b32 vcc_lo, exec_lo, s30
	s_mov_b32 s20, 0
	s_cbranch_vccnz .LBB35_57
; %bb.53:                               ;   in Loop: Header=BB35_9 Depth=1
	v_dual_mov_b32 v0, 0 :: v_dual_mov_b32 v1, v7
	s_mov_b32 s36, 0
	s_mov_b64 s[20:21], s[18:19]
	s_mov_b64 s[22:23], s[0:1]
.LBB35_54:                              ;   Parent Loop BB35_9 Depth=1
                                        ; =>  This Inner Loop Header: Depth=2
	s_clause 0x1
	s_load_b256 s[40:47], s[20:21], 0x4
	s_load_b128 s[48:51], s[20:21], 0x24
	s_load_b128 s[52:55], s[22:23], 0x0
	s_add_u32 s20, s20, 48
	s_addc_u32 s21, s21, 0
	s_add_i32 s36, s36, 4
	s_add_u32 s22, s22, 16
	s_addc_u32 s23, s23, 0
	s_cmp_eq_u32 s31, s36
	s_waitcnt lgkmcnt(0)
	v_mul_hi_u32 v8, s41, v1
	s_delay_alu instid0(VALU_DEP_1) | instskip(NEXT) | instid1(VALU_DEP_1)
	v_add_nc_u32_e32 v8, v1, v8
	v_lshrrev_b32_e32 v8, s42, v8
	s_delay_alu instid0(VALU_DEP_1) | instskip(SKIP_1) | instid1(VALU_DEP_2)
	v_mul_hi_u32 v9, s44, v8
	v_mul_lo_u32 v41, v8, s40
	v_add_nc_u32_e32 v9, v8, v9
	s_delay_alu instid0(VALU_DEP_2) | instskip(NEXT) | instid1(VALU_DEP_2)
	v_sub_nc_u32_e32 v41, v1, v41
	v_lshrrev_b32_e32 v9, s45, v9
	s_delay_alu instid0(VALU_DEP_2) | instskip(NEXT) | instid1(VALU_DEP_2)
	v_mul_lo_u32 v41, v41, s52
	v_mul_hi_u32 v10, s47, v9
	v_mul_lo_u32 v42, v9, s43
	s_delay_alu instid0(VALU_DEP_2) | instskip(NEXT) | instid1(VALU_DEP_2)
	v_add_nc_u32_e32 v10, v9, v10
	v_sub_nc_u32_e32 v8, v8, v42
	s_delay_alu instid0(VALU_DEP_2) | instskip(NEXT) | instid1(VALU_DEP_2)
	v_lshrrev_b32_e32 v10, s48, v10
	v_mul_lo_u32 v8, v8, s53
	s_delay_alu instid0(VALU_DEP_2) | instskip(NEXT) | instid1(VALU_DEP_2)
	v_mul_hi_u32 v16, s50, v10
	v_add3_u32 v0, v41, v0, v8
	s_delay_alu instid0(VALU_DEP_2) | instskip(NEXT) | instid1(VALU_DEP_1)
	v_add_nc_u32_e32 v16, v10, v16
	v_lshrrev_b32_e32 v1, s51, v16
	v_mul_lo_u32 v16, v10, s46
	s_delay_alu instid0(VALU_DEP_2) | instskip(NEXT) | instid1(VALU_DEP_2)
	v_mul_lo_u32 v43, v1, s49
	v_sub_nc_u32_e32 v9, v9, v16
	s_delay_alu instid0(VALU_DEP_2) | instskip(NEXT) | instid1(VALU_DEP_2)
	v_sub_nc_u32_e32 v10, v10, v43
	v_mul_lo_u32 v9, v9, s54
	s_delay_alu instid0(VALU_DEP_2) | instskip(NEXT) | instid1(VALU_DEP_1)
	v_mul_lo_u32 v10, v10, s55
	v_add3_u32 v0, v9, v0, v10
	s_cbranch_scc0 .LBB35_54
; %bb.55:                               ;   in Loop: Header=BB35_9 Depth=1
	s_mov_b32 s20, s31
	s_and_not1_b32 vcc_lo, exec_lo, s34
	s_cbranch_vccz .LBB35_58
	s_branch .LBB35_60
.LBB35_56:                              ;   in Loop: Header=BB35_9 Depth=1
                                        ; implicit-def: $vgpr0
	s_branch .LBB35_61
.LBB35_57:                              ;   in Loop: Header=BB35_9 Depth=1
	v_mov_b32_e32 v1, v7
	s_and_not1_b32 vcc_lo, exec_lo, s34
	s_cbranch_vccnz .LBB35_60
.LBB35_58:                              ;   in Loop: Header=BB35_9 Depth=1
	s_lshl_b32 s21, s20, 2
	s_mul_i32 s22, s20, 12
	s_add_u32 s20, s0, s21
	s_addc_u32 s21, s1, 0
	s_add_u32 s22, s18, s22
	s_addc_u32 s23, s19, 0
	s_mov_b32 s36, s29
	.p2align	6
.LBB35_59:                              ;   Parent Loop BB35_9 Depth=1
                                        ; =>  This Inner Loop Header: Depth=2
	s_clause 0x1
	s_load_b64 s[38:39], s[22:23], 0x4
	s_load_b32 s37, s[22:23], 0xc
	s_add_u32 s22, s22, 12
	s_addc_u32 s23, s23, 0
	s_waitcnt lgkmcnt(0)
	v_mul_hi_u32 v8, s39, v1
	s_load_b32 s39, s[20:21], 0x0
	s_add_u32 s20, s20, 4
	s_addc_u32 s21, s21, 0
	s_add_i32 s36, s36, -1
	s_delay_alu instid0(SALU_CYCLE_1) | instskip(NEXT) | instid1(VALU_DEP_1)
	s_cmp_lg_u32 s36, 0
	v_add_nc_u32_e32 v8, v1, v8
	s_delay_alu instid0(VALU_DEP_1) | instskip(NEXT) | instid1(VALU_DEP_1)
	v_lshrrev_b32_e32 v10, s37, v8
	v_mul_lo_u32 v8, v10, s38
	s_delay_alu instid0(VALU_DEP_1) | instskip(SKIP_1) | instid1(VALU_DEP_1)
	v_sub_nc_u32_e32 v1, v1, v8
	s_waitcnt lgkmcnt(0)
	v_mad_u64_u32 v[8:9], null, v1, s39, v[0:1]
	s_delay_alu instid0(VALU_DEP_1)
	v_dual_mov_b32 v1, v10 :: v_dual_mov_b32 v0, v8
	s_cbranch_scc1 .LBB35_59
.LBB35_60:                              ;   in Loop: Header=BB35_9 Depth=1
	s_cbranch_execnz .LBB35_63
.LBB35_61:                              ;   in Loop: Header=BB35_9 Depth=1
	v_mul_hi_u32 v0, v7, s6
	s_and_not1_b32 vcc_lo, exec_lo, s4
	s_delay_alu instid0(VALU_DEP_1) | instskip(NEXT) | instid1(VALU_DEP_1)
	v_add_nc_u32_e32 v0, v0, v7
	v_lshrrev_b32_e32 v1, s7, v0
	s_delay_alu instid0(VALU_DEP_1) | instskip(NEXT) | instid1(VALU_DEP_1)
	v_mul_lo_u32 v0, v1, s5
	v_sub_nc_u32_e32 v0, v7, v0
	s_waitcnt lgkmcnt(0)
	s_delay_alu instid0(VALU_DEP_1)
	v_mul_lo_u32 v0, v0, s14
	s_cbranch_vccnz .LBB35_63
; %bb.62:                               ;   in Loop: Header=BB35_9 Depth=1
	v_mul_hi_u32 v7, s9, v1
	s_delay_alu instid0(VALU_DEP_1) | instskip(NEXT) | instid1(VALU_DEP_1)
	v_add_nc_u32_e32 v7, v1, v7
	v_lshrrev_b32_e32 v7, s10, v7
	s_delay_alu instid0(VALU_DEP_1) | instskip(NEXT) | instid1(VALU_DEP_1)
	v_mul_lo_u32 v7, v7, s8
	v_sub_nc_u32_e32 v1, v1, v7
	s_delay_alu instid0(VALU_DEP_1) | instskip(NEXT) | instid1(VALU_DEP_1)
	v_mad_u64_u32 v[7:8], null, v1, s15, v[0:1]
	v_mov_b32_e32 v0, v7
.LBB35_63:                              ;   in Loop: Header=BB35_9 Depth=1
	v_cvt_f32_u32_e32 v1, v2
	s_delay_alu instid0(VALU_DEP_1) | instskip(NEXT) | instid1(VALU_DEP_1)
	v_fmaak_f32 v1, 0x2f800000, v1, 0x2f800000
	v_cmp_gt_f32_e32 vcc_lo, 0x800000, v1
	v_cndmask_b32_e64 v2, 1.0, 0x4f800000, vcc_lo
	s_delay_alu instid0(VALU_DEP_1) | instskip(NEXT) | instid1(VALU_DEP_1)
	v_mul_f32_e32 v1, v1, v2
	v_log_f32_e32 v1, v1
	s_waitcnt_depctr 0xfff
	v_mul_f32_e32 v2, 0x3f317217, v1
	s_delay_alu instid0(VALU_DEP_1) | instskip(NEXT) | instid1(VALU_DEP_1)
	v_fma_f32 v7, 0x3f317217, v1, -v2
	v_fmac_f32_e32 v7, 0x3377d1cf, v1
	s_delay_alu instid0(VALU_DEP_1) | instskip(SKIP_2) | instid1(VALU_DEP_3)
	v_add_f32_e32 v2, v2, v7
	v_cndmask_b32_e64 v7, 0, 0x41b17218, vcc_lo
	v_cmp_gt_f32_e64 vcc_lo, 0x7f800000, |v1|
	v_cndmask_b32_e32 v1, v1, v2, vcc_lo
	s_delay_alu instid0(VALU_DEP_1) | instskip(NEXT) | instid1(VALU_DEP_1)
	v_sub_f32_e32 v1, v1, v7
	v_div_scale_f32 v2, null, v39, v39, v1
	s_delay_alu instid0(VALU_DEP_1) | instskip(SKIP_2) | instid1(VALU_DEP_1)
	v_rcp_f32_e32 v7, v2
	s_waitcnt_depctr 0xfff
	v_fma_f32 v8, -v2, v7, 1.0
	v_fmac_f32_e32 v7, v8, v7
	v_div_scale_f32 v8, vcc_lo, v1, v39, v1
	s_delay_alu instid0(VALU_DEP_1) | instskip(NEXT) | instid1(VALU_DEP_1)
	v_mul_f32_e32 v9, v8, v7
	v_fma_f32 v10, -v2, v9, v8
	s_delay_alu instid0(VALU_DEP_1) | instskip(NEXT) | instid1(VALU_DEP_1)
	v_fmac_f32_e32 v9, v10, v7
	v_fma_f32 v2, -v2, v9, v8
	s_delay_alu instid0(VALU_DEP_1) | instskip(NEXT) | instid1(VALU_DEP_1)
	v_div_fmas_f32 v2, v2, v7, v9
	v_div_fixup_f32 v1, v2, v39, v1
	s_delay_alu instid0(VALU_DEP_1) | instskip(NEXT) | instid1(VALU_DEP_1)
	v_ceil_f32_e32 v1, v1
	v_bfe_u32 v2, v1, 16, 1
	v_cmp_o_f32_e32 vcc_lo, v1, v1
	s_delay_alu instid0(VALU_DEP_2) | instskip(NEXT) | instid1(VALU_DEP_1)
	v_add3_u32 v2, v1, v2, 0x7fff
	v_lshrrev_b32_e32 v2, 16, v2
	s_delay_alu instid0(VALU_DEP_1)
	v_cndmask_b32_e32 v1, 0x7fc0, v2, vcc_lo
	global_store_b16 v0, v1, s[12:13]
.LBB35_64:                              ;   in Loop: Header=BB35_9 Depth=1
	s_or_b32 exec_lo, exec_lo, s35
	v_add_co_u32 v1, vcc_lo, v13, s33
	v_add_co_ci_u32_e32 v2, vcc_lo, 0, v14, vcc_lo
	s_mov_b32 s35, exec_lo
	s_delay_alu instid0(VALU_DEP_1)
	v_cmpx_gt_i64_e64 s[16:17], v[1:2]
	s_cbranch_execz .LBB35_8
; %bb.65:                               ;   in Loop: Header=BB35_9 Depth=1
	s_and_not1_b32 vcc_lo, exec_lo, s11
	s_cbranch_vccnz .LBB35_71
; %bb.66:                               ;   in Loop: Header=BB35_9 Depth=1
	v_mov_b32_e32 v0, 0
	s_and_not1_b32 vcc_lo, exec_lo, s27
	s_cbranch_vccnz .LBB35_75
; %bb.67:                               ;   in Loop: Header=BB35_9 Depth=1
	s_and_not1_b32 vcc_lo, exec_lo, s30
	s_mov_b32 s20, 0
	s_cbranch_vccnz .LBB35_72
; %bb.68:                               ;   in Loop: Header=BB35_9 Depth=1
	v_mov_b32_e32 v0, 0
	v_mov_b32_e32 v2, v1
	s_mov_b32 s36, 0
	s_mov_b64 s[20:21], s[18:19]
	s_mov_b64 s[22:23], s[0:1]
.LBB35_69:                              ;   Parent Loop BB35_9 Depth=1
                                        ; =>  This Inner Loop Header: Depth=2
	s_clause 0x1
	s_load_b256 s[40:47], s[20:21], 0x4
	s_load_b128 s[48:51], s[20:21], 0x24
	s_load_b128 s[52:55], s[22:23], 0x0
	s_add_u32 s20, s20, 48
	s_addc_u32 s21, s21, 0
	s_add_i32 s36, s36, 4
	s_add_u32 s22, s22, 16
	s_addc_u32 s23, s23, 0
	s_cmp_eq_u32 s31, s36
	s_waitcnt lgkmcnt(0)
	v_mul_hi_u32 v7, s41, v2
	s_delay_alu instid0(VALU_DEP_1) | instskip(NEXT) | instid1(VALU_DEP_1)
	v_add_nc_u32_e32 v7, v2, v7
	v_lshrrev_b32_e32 v7, s42, v7
	s_delay_alu instid0(VALU_DEP_1) | instskip(SKIP_1) | instid1(VALU_DEP_2)
	v_mul_hi_u32 v8, s44, v7
	v_mul_lo_u32 v16, v7, s40
	v_add_nc_u32_e32 v8, v7, v8
	s_delay_alu instid0(VALU_DEP_2) | instskip(NEXT) | instid1(VALU_DEP_2)
	v_sub_nc_u32_e32 v16, v2, v16
	v_lshrrev_b32_e32 v8, s45, v8
	s_delay_alu instid0(VALU_DEP_2) | instskip(NEXT) | instid1(VALU_DEP_2)
	v_mul_lo_u32 v16, v16, s52
	v_mul_hi_u32 v9, s47, v8
	v_mul_lo_u32 v41, v8, s43
	s_delay_alu instid0(VALU_DEP_2) | instskip(NEXT) | instid1(VALU_DEP_2)
	v_add_nc_u32_e32 v9, v8, v9
	v_sub_nc_u32_e32 v7, v7, v41
	s_delay_alu instid0(VALU_DEP_2) | instskip(NEXT) | instid1(VALU_DEP_2)
	v_lshrrev_b32_e32 v9, s48, v9
	v_mul_lo_u32 v7, v7, s53
	s_delay_alu instid0(VALU_DEP_2) | instskip(NEXT) | instid1(VALU_DEP_2)
	v_mul_hi_u32 v10, s50, v9
	v_add3_u32 v0, v16, v0, v7
	s_delay_alu instid0(VALU_DEP_2) | instskip(NEXT) | instid1(VALU_DEP_1)
	v_add_nc_u32_e32 v10, v9, v10
	v_lshrrev_b32_e32 v2, s51, v10
	v_mul_lo_u32 v10, v9, s46
	s_delay_alu instid0(VALU_DEP_2) | instskip(NEXT) | instid1(VALU_DEP_2)
	v_mul_lo_u32 v42, v2, s49
	v_sub_nc_u32_e32 v8, v8, v10
	s_delay_alu instid0(VALU_DEP_2) | instskip(NEXT) | instid1(VALU_DEP_2)
	v_sub_nc_u32_e32 v9, v9, v42
	v_mul_lo_u32 v8, v8, s54
	s_delay_alu instid0(VALU_DEP_2) | instskip(NEXT) | instid1(VALU_DEP_1)
	v_mul_lo_u32 v9, v9, s55
	v_add3_u32 v0, v8, v0, v9
	s_cbranch_scc0 .LBB35_69
; %bb.70:                               ;   in Loop: Header=BB35_9 Depth=1
	s_mov_b32 s20, s31
	s_and_not1_b32 vcc_lo, exec_lo, s34
	s_cbranch_vccz .LBB35_73
	s_branch .LBB35_75
.LBB35_71:                              ;   in Loop: Header=BB35_9 Depth=1
                                        ; implicit-def: $vgpr0
	s_branch .LBB35_76
.LBB35_72:                              ;   in Loop: Header=BB35_9 Depth=1
	v_mov_b32_e32 v2, v1
	s_and_not1_b32 vcc_lo, exec_lo, s34
	s_cbranch_vccnz .LBB35_75
.LBB35_73:                              ;   in Loop: Header=BB35_9 Depth=1
	s_lshl_b32 s21, s20, 2
	s_mul_i32 s22, s20, 12
	s_add_u32 s20, s0, s21
	s_addc_u32 s21, s1, 0
	s_add_u32 s22, s18, s22
	s_addc_u32 s23, s19, 0
	s_mov_b32 s36, s29
	.p2align	6
.LBB35_74:                              ;   Parent Loop BB35_9 Depth=1
                                        ; =>  This Inner Loop Header: Depth=2
	s_clause 0x1
	s_load_b64 s[38:39], s[22:23], 0x4
	s_load_b32 s37, s[22:23], 0xc
	s_add_u32 s22, s22, 12
	s_addc_u32 s23, s23, 0
	s_waitcnt lgkmcnt(0)
	v_mul_hi_u32 v7, s39, v2
	s_load_b32 s39, s[20:21], 0x0
	s_add_u32 s20, s20, 4
	s_addc_u32 s21, s21, 0
	s_add_i32 s36, s36, -1
	s_delay_alu instid0(SALU_CYCLE_1) | instskip(NEXT) | instid1(VALU_DEP_1)
	s_cmp_lg_u32 s36, 0
	v_add_nc_u32_e32 v7, v2, v7
	s_delay_alu instid0(VALU_DEP_1) | instskip(NEXT) | instid1(VALU_DEP_1)
	v_lshrrev_b32_e32 v9, s37, v7
	v_mul_lo_u32 v7, v9, s38
	s_delay_alu instid0(VALU_DEP_1) | instskip(SKIP_1) | instid1(VALU_DEP_1)
	v_sub_nc_u32_e32 v2, v2, v7
	s_waitcnt lgkmcnt(0)
	v_mad_u64_u32 v[7:8], null, v2, s39, v[0:1]
	v_mov_b32_e32 v2, v9
	s_delay_alu instid0(VALU_DEP_2)
	v_mov_b32_e32 v0, v7
	s_cbranch_scc1 .LBB35_74
.LBB35_75:                              ;   in Loop: Header=BB35_9 Depth=1
	s_cbranch_execnz .LBB35_7
.LBB35_76:                              ;   in Loop: Header=BB35_9 Depth=1
	v_mul_hi_u32 v0, v1, s6
	s_and_not1_b32 vcc_lo, exec_lo, s4
	s_delay_alu instid0(VALU_DEP_1) | instskip(NEXT) | instid1(VALU_DEP_1)
	v_add_nc_u32_e32 v0, v0, v1
	v_lshrrev_b32_e32 v2, s7, v0
	s_delay_alu instid0(VALU_DEP_1) | instskip(NEXT) | instid1(VALU_DEP_1)
	v_mul_lo_u32 v0, v2, s5
	v_sub_nc_u32_e32 v0, v1, v0
	s_waitcnt lgkmcnt(0)
	s_delay_alu instid0(VALU_DEP_1)
	v_mul_lo_u32 v0, v0, s14
	s_cbranch_vccnz .LBB35_7
; %bb.77:                               ;   in Loop: Header=BB35_9 Depth=1
	v_mul_hi_u32 v1, s9, v2
	s_delay_alu instid0(VALU_DEP_1) | instskip(NEXT) | instid1(VALU_DEP_1)
	v_add_nc_u32_e32 v1, v2, v1
	v_lshrrev_b32_e32 v1, s10, v1
	s_delay_alu instid0(VALU_DEP_1) | instskip(NEXT) | instid1(VALU_DEP_1)
	v_mul_lo_u32 v1, v1, s8
	v_sub_nc_u32_e32 v7, v2, v1
	s_delay_alu instid0(VALU_DEP_1) | instskip(NEXT) | instid1(VALU_DEP_1)
	v_mad_u64_u32 v[1:2], null, v7, s15, v[0:1]
	v_mov_b32_e32 v0, v1
	s_branch .LBB35_7
.LBB35_78:
	s_endpgm
.LBB35_79:
                                        ; implicit-def: $sgpr2_sgpr3
	s_branch .LBB35_4
	.section	.rodata,"a",@progbits
	.p2align	6, 0x0
	.amdhsa_kernel _ZN2at6native12_GLOBAL__N_143distribution_elementwise_grid_stride_kernelIfLi4EZNS0_9templates4cuda21uniform_and_transformIN3c108BFloat16EfPNS_17CUDAGeneratorImplEZZZNS4_16geometric_kernelIS9_EEvRNS_18TensorIteratorBaseEdT_ENKUlvE_clEvENKUlvE7_clEvEUlfE_EEvSC_T1_T2_EUlP25hiprandStatePhilox4_32_10E0_ZNS1_27distribution_nullary_kernelIS7_f15HIP_vector_typeIfLj4EES9_SL_SG_EEvSC_SI_RKT3_T4_EUlifE0_EEvlNS_15PhiloxCudaStateESH_SI_
		.amdhsa_group_segment_fixed_size 0
		.amdhsa_private_segment_fixed_size 0
		.amdhsa_kernarg_size 584
		.amdhsa_user_sgpr_count 15
		.amdhsa_user_sgpr_dispatch_ptr 0
		.amdhsa_user_sgpr_queue_ptr 0
		.amdhsa_user_sgpr_kernarg_segment_ptr 1
		.amdhsa_user_sgpr_dispatch_id 0
		.amdhsa_user_sgpr_private_segment_size 0
		.amdhsa_wavefront_size32 1
		.amdhsa_uses_dynamic_stack 0
		.amdhsa_enable_private_segment 0
		.amdhsa_system_sgpr_workgroup_id_x 1
		.amdhsa_system_sgpr_workgroup_id_y 0
		.amdhsa_system_sgpr_workgroup_id_z 0
		.amdhsa_system_sgpr_workgroup_info 0
		.amdhsa_system_vgpr_workitem_id 0
		.amdhsa_next_free_vgpr 45
		.amdhsa_next_free_sgpr 56
		.amdhsa_reserve_vcc 1
		.amdhsa_float_round_mode_32 0
		.amdhsa_float_round_mode_16_64 0
		.amdhsa_float_denorm_mode_32 3
		.amdhsa_float_denorm_mode_16_64 3
		.amdhsa_dx10_clamp 1
		.amdhsa_ieee_mode 1
		.amdhsa_fp16_overflow 0
		.amdhsa_workgroup_processor_mode 1
		.amdhsa_memory_ordered 1
		.amdhsa_forward_progress 0
		.amdhsa_shared_vgpr_count 0
		.amdhsa_exception_fp_ieee_invalid_op 0
		.amdhsa_exception_fp_denorm_src 0
		.amdhsa_exception_fp_ieee_div_zero 0
		.amdhsa_exception_fp_ieee_overflow 0
		.amdhsa_exception_fp_ieee_underflow 0
		.amdhsa_exception_fp_ieee_inexact 0
		.amdhsa_exception_int_div_zero 0
	.end_amdhsa_kernel
	.section	.text._ZN2at6native12_GLOBAL__N_143distribution_elementwise_grid_stride_kernelIfLi4EZNS0_9templates4cuda21uniform_and_transformIN3c108BFloat16EfPNS_17CUDAGeneratorImplEZZZNS4_16geometric_kernelIS9_EEvRNS_18TensorIteratorBaseEdT_ENKUlvE_clEvENKUlvE7_clEvEUlfE_EEvSC_T1_T2_EUlP25hiprandStatePhilox4_32_10E0_ZNS1_27distribution_nullary_kernelIS7_f15HIP_vector_typeIfLj4EES9_SL_SG_EEvSC_SI_RKT3_T4_EUlifE0_EEvlNS_15PhiloxCudaStateESH_SI_,"axG",@progbits,_ZN2at6native12_GLOBAL__N_143distribution_elementwise_grid_stride_kernelIfLi4EZNS0_9templates4cuda21uniform_and_transformIN3c108BFloat16EfPNS_17CUDAGeneratorImplEZZZNS4_16geometric_kernelIS9_EEvRNS_18TensorIteratorBaseEdT_ENKUlvE_clEvENKUlvE7_clEvEUlfE_EEvSC_T1_T2_EUlP25hiprandStatePhilox4_32_10E0_ZNS1_27distribution_nullary_kernelIS7_f15HIP_vector_typeIfLj4EES9_SL_SG_EEvSC_SI_RKT3_T4_EUlifE0_EEvlNS_15PhiloxCudaStateESH_SI_,comdat
.Lfunc_end35:
	.size	_ZN2at6native12_GLOBAL__N_143distribution_elementwise_grid_stride_kernelIfLi4EZNS0_9templates4cuda21uniform_and_transformIN3c108BFloat16EfPNS_17CUDAGeneratorImplEZZZNS4_16geometric_kernelIS9_EEvRNS_18TensorIteratorBaseEdT_ENKUlvE_clEvENKUlvE7_clEvEUlfE_EEvSC_T1_T2_EUlP25hiprandStatePhilox4_32_10E0_ZNS1_27distribution_nullary_kernelIS7_f15HIP_vector_typeIfLj4EES9_SL_SG_EEvSC_SI_RKT3_T4_EUlifE0_EEvlNS_15PhiloxCudaStateESH_SI_, .Lfunc_end35-_ZN2at6native12_GLOBAL__N_143distribution_elementwise_grid_stride_kernelIfLi4EZNS0_9templates4cuda21uniform_and_transformIN3c108BFloat16EfPNS_17CUDAGeneratorImplEZZZNS4_16geometric_kernelIS9_EEvRNS_18TensorIteratorBaseEdT_ENKUlvE_clEvENKUlvE7_clEvEUlfE_EEvSC_T1_T2_EUlP25hiprandStatePhilox4_32_10E0_ZNS1_27distribution_nullary_kernelIS7_f15HIP_vector_typeIfLj4EES9_SL_SG_EEvSC_SI_RKT3_T4_EUlifE0_EEvlNS_15PhiloxCudaStateESH_SI_
                                        ; -- End function
	.section	.AMDGPU.csdata,"",@progbits
; Kernel info:
; codeLenInByte = 6916
; NumSgprs: 58
; NumVgprs: 45
; ScratchSize: 0
; MemoryBound: 0
; FloatMode: 240
; IeeeMode: 1
; LDSByteSize: 0 bytes/workgroup (compile time only)
; SGPRBlocks: 7
; VGPRBlocks: 5
; NumSGPRsForWavesPerEU: 58
; NumVGPRsForWavesPerEU: 45
; Occupancy: 16
; WaveLimiterHint : 1
; COMPUTE_PGM_RSRC2:SCRATCH_EN: 0
; COMPUTE_PGM_RSRC2:USER_SGPR: 15
; COMPUTE_PGM_RSRC2:TRAP_HANDLER: 0
; COMPUTE_PGM_RSRC2:TGID_X_EN: 1
; COMPUTE_PGM_RSRC2:TGID_Y_EN: 0
; COMPUTE_PGM_RSRC2:TGID_Z_EN: 0
; COMPUTE_PGM_RSRC2:TIDIG_COMP_CNT: 0
	.text
	.p2alignl 7, 3214868480
	.fill 96, 4, 3214868480
	.type	__hip_cuid_f3baaa05afee2a80,@object ; @__hip_cuid_f3baaa05afee2a80
	.section	.bss,"aw",@nobits
	.globl	__hip_cuid_f3baaa05afee2a80
__hip_cuid_f3baaa05afee2a80:
	.byte	0                               ; 0x0
	.size	__hip_cuid_f3baaa05afee2a80, 1

	.ident	"AMD clang version 19.0.0git (https://github.com/RadeonOpenCompute/llvm-project roc-6.4.0 25133 c7fe45cf4b819c5991fe208aaa96edf142730f1d)"
	.section	".note.GNU-stack","",@progbits
	.addrsig
	.addrsig_sym __hip_cuid_f3baaa05afee2a80
	.amdgpu_metadata
---
amdhsa.kernels:
  - .args:
      - .offset:         0
        .size:           8
        .value_kind:     by_value
      - .offset:         8
        .size:           32
        .value_kind:     by_value
      - .offset:         40
        .size:           1
        .value_kind:     by_value
      - .offset:         48
        .size:           24
        .value_kind:     by_value
      - .offset:         72
        .size:           4
        .value_kind:     hidden_block_count_x
      - .offset:         76
        .size:           4
        .value_kind:     hidden_block_count_y
      - .offset:         80
        .size:           4
        .value_kind:     hidden_block_count_z
      - .offset:         84
        .size:           2
        .value_kind:     hidden_group_size_x
      - .offset:         86
        .size:           2
        .value_kind:     hidden_group_size_y
      - .offset:         88
        .size:           2
        .value_kind:     hidden_group_size_z
      - .offset:         90
        .size:           2
        .value_kind:     hidden_remainder_x
      - .offset:         92
        .size:           2
        .value_kind:     hidden_remainder_y
      - .offset:         94
        .size:           2
        .value_kind:     hidden_remainder_z
      - .offset:         112
        .size:           8
        .value_kind:     hidden_global_offset_x
      - .offset:         120
        .size:           8
        .value_kind:     hidden_global_offset_y
      - .offset:         128
        .size:           8
        .value_kind:     hidden_global_offset_z
      - .offset:         136
        .size:           2
        .value_kind:     hidden_grid_dims
    .group_segment_fixed_size: 0
    .kernarg_segment_align: 8
    .kernarg_segment_size: 328
    .language:       OpenCL C
    .language_version:
      - 2
      - 0
    .max_flat_workgroup_size: 256
    .name:           _ZN2at6native12_GLOBAL__N_143distribution_elementwise_grid_stride_kernelIfLi4EZNS0_9templates4cuda21uniform_and_transformIhfPNS_17CUDAGeneratorImplEZZZNS4_16geometric_kernelIS7_EEvRNS_18TensorIteratorBaseEdT_ENKUlvE_clEvENKUlvE_clEvEUlfE_EEvSA_T1_T2_EUlP25hiprandStatePhilox4_32_10E_ZNS1_27distribution_nullary_kernelIhf15HIP_vector_typeIdLj2EES7_SJ_SE_EEvSA_SG_RKT3_T4_EUlifE_EEvlNS_15PhiloxCudaStateESF_SG_
    .private_segment_fixed_size: 0
    .sgpr_count:     25
    .sgpr_spill_count: 0
    .symbol:         _ZN2at6native12_GLOBAL__N_143distribution_elementwise_grid_stride_kernelIfLi4EZNS0_9templates4cuda21uniform_and_transformIhfPNS_17CUDAGeneratorImplEZZZNS4_16geometric_kernelIS7_EEvRNS_18TensorIteratorBaseEdT_ENKUlvE_clEvENKUlvE_clEvEUlfE_EEvSA_T1_T2_EUlP25hiprandStatePhilox4_32_10E_ZNS1_27distribution_nullary_kernelIhf15HIP_vector_typeIdLj2EES7_SJ_SE_EEvSA_SG_RKT3_T4_EUlifE_EEvlNS_15PhiloxCudaStateESF_SG_.kd
    .uniform_work_group_size: 1
    .uses_dynamic_stack: false
    .vgpr_count:     48
    .vgpr_spill_count: 0
    .wavefront_size: 32
    .workgroup_processor_mode: 1
  - .args:
      - .offset:         0
        .size:           8
        .value_kind:     by_value
      - .offset:         8
        .size:           32
        .value_kind:     by_value
      - .offset:         40
        .size:           1
        .value_kind:     by_value
      - .offset:         48
        .size:           280
        .value_kind:     by_value
      - .offset:         328
        .size:           4
        .value_kind:     hidden_block_count_x
      - .offset:         332
        .size:           4
        .value_kind:     hidden_block_count_y
      - .offset:         336
        .size:           4
        .value_kind:     hidden_block_count_z
      - .offset:         340
        .size:           2
        .value_kind:     hidden_group_size_x
      - .offset:         342
        .size:           2
        .value_kind:     hidden_group_size_y
      - .offset:         344
        .size:           2
        .value_kind:     hidden_group_size_z
      - .offset:         346
        .size:           2
        .value_kind:     hidden_remainder_x
      - .offset:         348
        .size:           2
        .value_kind:     hidden_remainder_y
      - .offset:         350
        .size:           2
        .value_kind:     hidden_remainder_z
      - .offset:         368
        .size:           8
        .value_kind:     hidden_global_offset_x
      - .offset:         376
        .size:           8
        .value_kind:     hidden_global_offset_y
      - .offset:         384
        .size:           8
        .value_kind:     hidden_global_offset_z
      - .offset:         392
        .size:           2
        .value_kind:     hidden_grid_dims
    .group_segment_fixed_size: 0
    .kernarg_segment_align: 8
    .kernarg_segment_size: 584
    .language:       OpenCL C
    .language_version:
      - 2
      - 0
    .max_flat_workgroup_size: 256
    .name:           _ZN2at6native12_GLOBAL__N_143distribution_elementwise_grid_stride_kernelIfLi4EZNS0_9templates4cuda21uniform_and_transformIhfPNS_17CUDAGeneratorImplEZZZNS4_16geometric_kernelIS7_EEvRNS_18TensorIteratorBaseEdT_ENKUlvE_clEvENKUlvE_clEvEUlfE_EEvSA_T1_T2_EUlP25hiprandStatePhilox4_32_10E_ZNS1_27distribution_nullary_kernelIhf15HIP_vector_typeIdLj2EES7_SJ_SE_EEvSA_SG_RKT3_T4_EUlifE0_EEvlNS_15PhiloxCudaStateESF_SG_
    .private_segment_fixed_size: 0
    .sgpr_count:     58
    .sgpr_spill_count: 0
    .symbol:         _ZN2at6native12_GLOBAL__N_143distribution_elementwise_grid_stride_kernelIfLi4EZNS0_9templates4cuda21uniform_and_transformIhfPNS_17CUDAGeneratorImplEZZZNS4_16geometric_kernelIS7_EEvRNS_18TensorIteratorBaseEdT_ENKUlvE_clEvENKUlvE_clEvEUlfE_EEvSA_T1_T2_EUlP25hiprandStatePhilox4_32_10E_ZNS1_27distribution_nullary_kernelIhf15HIP_vector_typeIdLj2EES7_SJ_SE_EEvSA_SG_RKT3_T4_EUlifE0_EEvlNS_15PhiloxCudaStateESF_SG_.kd
    .uniform_work_group_size: 1
    .uses_dynamic_stack: false
    .vgpr_count:     46
    .vgpr_spill_count: 0
    .wavefront_size: 32
    .workgroup_processor_mode: 1
  - .args:
      - .offset:         0
        .size:           8
        .value_kind:     by_value
      - .offset:         8
        .size:           32
        .value_kind:     by_value
      - .offset:         40
        .size:           1
        .value_kind:     by_value
      - .offset:         48
        .size:           24
        .value_kind:     by_value
      - .offset:         72
        .size:           4
        .value_kind:     hidden_block_count_x
      - .offset:         76
        .size:           4
        .value_kind:     hidden_block_count_y
      - .offset:         80
        .size:           4
        .value_kind:     hidden_block_count_z
      - .offset:         84
        .size:           2
        .value_kind:     hidden_group_size_x
      - .offset:         86
        .size:           2
        .value_kind:     hidden_group_size_y
      - .offset:         88
        .size:           2
        .value_kind:     hidden_group_size_z
      - .offset:         90
        .size:           2
        .value_kind:     hidden_remainder_x
      - .offset:         92
        .size:           2
        .value_kind:     hidden_remainder_y
      - .offset:         94
        .size:           2
        .value_kind:     hidden_remainder_z
      - .offset:         112
        .size:           8
        .value_kind:     hidden_global_offset_x
      - .offset:         120
        .size:           8
        .value_kind:     hidden_global_offset_y
      - .offset:         128
        .size:           8
        .value_kind:     hidden_global_offset_z
      - .offset:         136
        .size:           2
        .value_kind:     hidden_grid_dims
    .group_segment_fixed_size: 0
    .kernarg_segment_align: 8
    .kernarg_segment_size: 328
    .language:       OpenCL C
    .language_version:
      - 2
      - 0
    .max_flat_workgroup_size: 256
    .name:           _ZN2at6native12_GLOBAL__N_143distribution_elementwise_grid_stride_kernelIfLi4EZNS0_9templates4cuda21uniform_and_transformIhfPNS_17CUDAGeneratorImplEZZZNS4_16geometric_kernelIS7_EEvRNS_18TensorIteratorBaseEdT_ENKUlvE_clEvENKUlvE_clEvEUlfE_EEvSA_T1_T2_EUlP25hiprandStatePhilox4_32_10E0_ZNS1_27distribution_nullary_kernelIhf15HIP_vector_typeIfLj4EES7_SJ_SE_EEvSA_SG_RKT3_T4_EUlifE_EEvlNS_15PhiloxCudaStateESF_SG_
    .private_segment_fixed_size: 0
    .sgpr_count:     25
    .sgpr_spill_count: 0
    .symbol:         _ZN2at6native12_GLOBAL__N_143distribution_elementwise_grid_stride_kernelIfLi4EZNS0_9templates4cuda21uniform_and_transformIhfPNS_17CUDAGeneratorImplEZZZNS4_16geometric_kernelIS7_EEvRNS_18TensorIteratorBaseEdT_ENKUlvE_clEvENKUlvE_clEvEUlfE_EEvSA_T1_T2_EUlP25hiprandStatePhilox4_32_10E0_ZNS1_27distribution_nullary_kernelIhf15HIP_vector_typeIfLj4EES7_SJ_SE_EEvSA_SG_RKT3_T4_EUlifE_EEvlNS_15PhiloxCudaStateESF_SG_.kd
    .uniform_work_group_size: 1
    .uses_dynamic_stack: false
    .vgpr_count:     45
    .vgpr_spill_count: 0
    .wavefront_size: 32
    .workgroup_processor_mode: 1
  - .args:
      - .offset:         0
        .size:           8
        .value_kind:     by_value
      - .offset:         8
        .size:           32
        .value_kind:     by_value
      - .offset:         40
        .size:           1
        .value_kind:     by_value
      - .offset:         48
        .size:           280
        .value_kind:     by_value
      - .offset:         328
        .size:           4
        .value_kind:     hidden_block_count_x
      - .offset:         332
        .size:           4
        .value_kind:     hidden_block_count_y
      - .offset:         336
        .size:           4
        .value_kind:     hidden_block_count_z
      - .offset:         340
        .size:           2
        .value_kind:     hidden_group_size_x
      - .offset:         342
        .size:           2
        .value_kind:     hidden_group_size_y
      - .offset:         344
        .size:           2
        .value_kind:     hidden_group_size_z
      - .offset:         346
        .size:           2
        .value_kind:     hidden_remainder_x
      - .offset:         348
        .size:           2
        .value_kind:     hidden_remainder_y
      - .offset:         350
        .size:           2
        .value_kind:     hidden_remainder_z
      - .offset:         368
        .size:           8
        .value_kind:     hidden_global_offset_x
      - .offset:         376
        .size:           8
        .value_kind:     hidden_global_offset_y
      - .offset:         384
        .size:           8
        .value_kind:     hidden_global_offset_z
      - .offset:         392
        .size:           2
        .value_kind:     hidden_grid_dims
    .group_segment_fixed_size: 0
    .kernarg_segment_align: 8
    .kernarg_segment_size: 584
    .language:       OpenCL C
    .language_version:
      - 2
      - 0
    .max_flat_workgroup_size: 256
    .name:           _ZN2at6native12_GLOBAL__N_143distribution_elementwise_grid_stride_kernelIfLi4EZNS0_9templates4cuda21uniform_and_transformIhfPNS_17CUDAGeneratorImplEZZZNS4_16geometric_kernelIS7_EEvRNS_18TensorIteratorBaseEdT_ENKUlvE_clEvENKUlvE_clEvEUlfE_EEvSA_T1_T2_EUlP25hiprandStatePhilox4_32_10E0_ZNS1_27distribution_nullary_kernelIhf15HIP_vector_typeIfLj4EES7_SJ_SE_EEvSA_SG_RKT3_T4_EUlifE0_EEvlNS_15PhiloxCudaStateESF_SG_
    .private_segment_fixed_size: 0
    .sgpr_count:     58
    .sgpr_spill_count: 0
    .symbol:         _ZN2at6native12_GLOBAL__N_143distribution_elementwise_grid_stride_kernelIfLi4EZNS0_9templates4cuda21uniform_and_transformIhfPNS_17CUDAGeneratorImplEZZZNS4_16geometric_kernelIS7_EEvRNS_18TensorIteratorBaseEdT_ENKUlvE_clEvENKUlvE_clEvEUlfE_EEvSA_T1_T2_EUlP25hiprandStatePhilox4_32_10E0_ZNS1_27distribution_nullary_kernelIhf15HIP_vector_typeIfLj4EES7_SJ_SE_EEvSA_SG_RKT3_T4_EUlifE0_EEvlNS_15PhiloxCudaStateESF_SG_.kd
    .uniform_work_group_size: 1
    .uses_dynamic_stack: false
    .vgpr_count:     45
    .vgpr_spill_count: 0
    .wavefront_size: 32
    .workgroup_processor_mode: 1
  - .args:
      - .offset:         0
        .size:           8
        .value_kind:     by_value
      - .offset:         8
        .size:           32
        .value_kind:     by_value
      - .offset:         40
        .size:           1
        .value_kind:     by_value
      - .offset:         48
        .size:           24
        .value_kind:     by_value
      - .offset:         72
        .size:           4
        .value_kind:     hidden_block_count_x
      - .offset:         76
        .size:           4
        .value_kind:     hidden_block_count_y
      - .offset:         80
        .size:           4
        .value_kind:     hidden_block_count_z
      - .offset:         84
        .size:           2
        .value_kind:     hidden_group_size_x
      - .offset:         86
        .size:           2
        .value_kind:     hidden_group_size_y
      - .offset:         88
        .size:           2
        .value_kind:     hidden_group_size_z
      - .offset:         90
        .size:           2
        .value_kind:     hidden_remainder_x
      - .offset:         92
        .size:           2
        .value_kind:     hidden_remainder_y
      - .offset:         94
        .size:           2
        .value_kind:     hidden_remainder_z
      - .offset:         112
        .size:           8
        .value_kind:     hidden_global_offset_x
      - .offset:         120
        .size:           8
        .value_kind:     hidden_global_offset_y
      - .offset:         128
        .size:           8
        .value_kind:     hidden_global_offset_z
      - .offset:         136
        .size:           2
        .value_kind:     hidden_grid_dims
    .group_segment_fixed_size: 0
    .kernarg_segment_align: 8
    .kernarg_segment_size: 328
    .language:       OpenCL C
    .language_version:
      - 2
      - 0
    .max_flat_workgroup_size: 256
    .name:           _ZN2at6native12_GLOBAL__N_143distribution_elementwise_grid_stride_kernelIfLi4EZNS0_9templates4cuda21uniform_and_transformIafPNS_17CUDAGeneratorImplEZZZNS4_16geometric_kernelIS7_EEvRNS_18TensorIteratorBaseEdT_ENKUlvE_clEvENKUlvE0_clEvEUlfE_EEvSA_T1_T2_EUlP25hiprandStatePhilox4_32_10E_ZNS1_27distribution_nullary_kernelIaf15HIP_vector_typeIdLj2EES7_SJ_SE_EEvSA_SG_RKT3_T4_EUlifE_EEvlNS_15PhiloxCudaStateESF_SG_
    .private_segment_fixed_size: 0
    .sgpr_count:     25
    .sgpr_spill_count: 0
    .symbol:         _ZN2at6native12_GLOBAL__N_143distribution_elementwise_grid_stride_kernelIfLi4EZNS0_9templates4cuda21uniform_and_transformIafPNS_17CUDAGeneratorImplEZZZNS4_16geometric_kernelIS7_EEvRNS_18TensorIteratorBaseEdT_ENKUlvE_clEvENKUlvE0_clEvEUlfE_EEvSA_T1_T2_EUlP25hiprandStatePhilox4_32_10E_ZNS1_27distribution_nullary_kernelIaf15HIP_vector_typeIdLj2EES7_SJ_SE_EEvSA_SG_RKT3_T4_EUlifE_EEvlNS_15PhiloxCudaStateESF_SG_.kd
    .uniform_work_group_size: 1
    .uses_dynamic_stack: false
    .vgpr_count:     48
    .vgpr_spill_count: 0
    .wavefront_size: 32
    .workgroup_processor_mode: 1
  - .args:
      - .offset:         0
        .size:           8
        .value_kind:     by_value
      - .offset:         8
        .size:           32
        .value_kind:     by_value
      - .offset:         40
        .size:           1
        .value_kind:     by_value
      - .offset:         48
        .size:           280
        .value_kind:     by_value
      - .offset:         328
        .size:           4
        .value_kind:     hidden_block_count_x
      - .offset:         332
        .size:           4
        .value_kind:     hidden_block_count_y
      - .offset:         336
        .size:           4
        .value_kind:     hidden_block_count_z
      - .offset:         340
        .size:           2
        .value_kind:     hidden_group_size_x
      - .offset:         342
        .size:           2
        .value_kind:     hidden_group_size_y
      - .offset:         344
        .size:           2
        .value_kind:     hidden_group_size_z
      - .offset:         346
        .size:           2
        .value_kind:     hidden_remainder_x
      - .offset:         348
        .size:           2
        .value_kind:     hidden_remainder_y
      - .offset:         350
        .size:           2
        .value_kind:     hidden_remainder_z
      - .offset:         368
        .size:           8
        .value_kind:     hidden_global_offset_x
      - .offset:         376
        .size:           8
        .value_kind:     hidden_global_offset_y
      - .offset:         384
        .size:           8
        .value_kind:     hidden_global_offset_z
      - .offset:         392
        .size:           2
        .value_kind:     hidden_grid_dims
    .group_segment_fixed_size: 0
    .kernarg_segment_align: 8
    .kernarg_segment_size: 584
    .language:       OpenCL C
    .language_version:
      - 2
      - 0
    .max_flat_workgroup_size: 256
    .name:           _ZN2at6native12_GLOBAL__N_143distribution_elementwise_grid_stride_kernelIfLi4EZNS0_9templates4cuda21uniform_and_transformIafPNS_17CUDAGeneratorImplEZZZNS4_16geometric_kernelIS7_EEvRNS_18TensorIteratorBaseEdT_ENKUlvE_clEvENKUlvE0_clEvEUlfE_EEvSA_T1_T2_EUlP25hiprandStatePhilox4_32_10E_ZNS1_27distribution_nullary_kernelIaf15HIP_vector_typeIdLj2EES7_SJ_SE_EEvSA_SG_RKT3_T4_EUlifE0_EEvlNS_15PhiloxCudaStateESF_SG_
    .private_segment_fixed_size: 0
    .sgpr_count:     58
    .sgpr_spill_count: 0
    .symbol:         _ZN2at6native12_GLOBAL__N_143distribution_elementwise_grid_stride_kernelIfLi4EZNS0_9templates4cuda21uniform_and_transformIafPNS_17CUDAGeneratorImplEZZZNS4_16geometric_kernelIS7_EEvRNS_18TensorIteratorBaseEdT_ENKUlvE_clEvENKUlvE0_clEvEUlfE_EEvSA_T1_T2_EUlP25hiprandStatePhilox4_32_10E_ZNS1_27distribution_nullary_kernelIaf15HIP_vector_typeIdLj2EES7_SJ_SE_EEvSA_SG_RKT3_T4_EUlifE0_EEvlNS_15PhiloxCudaStateESF_SG_.kd
    .uniform_work_group_size: 1
    .uses_dynamic_stack: false
    .vgpr_count:     46
    .vgpr_spill_count: 0
    .wavefront_size: 32
    .workgroup_processor_mode: 1
  - .args:
      - .offset:         0
        .size:           8
        .value_kind:     by_value
      - .offset:         8
        .size:           32
        .value_kind:     by_value
      - .offset:         40
        .size:           1
        .value_kind:     by_value
      - .offset:         48
        .size:           24
        .value_kind:     by_value
      - .offset:         72
        .size:           4
        .value_kind:     hidden_block_count_x
      - .offset:         76
        .size:           4
        .value_kind:     hidden_block_count_y
      - .offset:         80
        .size:           4
        .value_kind:     hidden_block_count_z
      - .offset:         84
        .size:           2
        .value_kind:     hidden_group_size_x
      - .offset:         86
        .size:           2
        .value_kind:     hidden_group_size_y
      - .offset:         88
        .size:           2
        .value_kind:     hidden_group_size_z
      - .offset:         90
        .size:           2
        .value_kind:     hidden_remainder_x
      - .offset:         92
        .size:           2
        .value_kind:     hidden_remainder_y
      - .offset:         94
        .size:           2
        .value_kind:     hidden_remainder_z
      - .offset:         112
        .size:           8
        .value_kind:     hidden_global_offset_x
      - .offset:         120
        .size:           8
        .value_kind:     hidden_global_offset_y
      - .offset:         128
        .size:           8
        .value_kind:     hidden_global_offset_z
      - .offset:         136
        .size:           2
        .value_kind:     hidden_grid_dims
    .group_segment_fixed_size: 0
    .kernarg_segment_align: 8
    .kernarg_segment_size: 328
    .language:       OpenCL C
    .language_version:
      - 2
      - 0
    .max_flat_workgroup_size: 256
    .name:           _ZN2at6native12_GLOBAL__N_143distribution_elementwise_grid_stride_kernelIfLi4EZNS0_9templates4cuda21uniform_and_transformIafPNS_17CUDAGeneratorImplEZZZNS4_16geometric_kernelIS7_EEvRNS_18TensorIteratorBaseEdT_ENKUlvE_clEvENKUlvE0_clEvEUlfE_EEvSA_T1_T2_EUlP25hiprandStatePhilox4_32_10E0_ZNS1_27distribution_nullary_kernelIaf15HIP_vector_typeIfLj4EES7_SJ_SE_EEvSA_SG_RKT3_T4_EUlifE_EEvlNS_15PhiloxCudaStateESF_SG_
    .private_segment_fixed_size: 0
    .sgpr_count:     25
    .sgpr_spill_count: 0
    .symbol:         _ZN2at6native12_GLOBAL__N_143distribution_elementwise_grid_stride_kernelIfLi4EZNS0_9templates4cuda21uniform_and_transformIafPNS_17CUDAGeneratorImplEZZZNS4_16geometric_kernelIS7_EEvRNS_18TensorIteratorBaseEdT_ENKUlvE_clEvENKUlvE0_clEvEUlfE_EEvSA_T1_T2_EUlP25hiprandStatePhilox4_32_10E0_ZNS1_27distribution_nullary_kernelIaf15HIP_vector_typeIfLj4EES7_SJ_SE_EEvSA_SG_RKT3_T4_EUlifE_EEvlNS_15PhiloxCudaStateESF_SG_.kd
    .uniform_work_group_size: 1
    .uses_dynamic_stack: false
    .vgpr_count:     45
    .vgpr_spill_count: 0
    .wavefront_size: 32
    .workgroup_processor_mode: 1
  - .args:
      - .offset:         0
        .size:           8
        .value_kind:     by_value
      - .offset:         8
        .size:           32
        .value_kind:     by_value
      - .offset:         40
        .size:           1
        .value_kind:     by_value
      - .offset:         48
        .size:           280
        .value_kind:     by_value
      - .offset:         328
        .size:           4
        .value_kind:     hidden_block_count_x
      - .offset:         332
        .size:           4
        .value_kind:     hidden_block_count_y
      - .offset:         336
        .size:           4
        .value_kind:     hidden_block_count_z
      - .offset:         340
        .size:           2
        .value_kind:     hidden_group_size_x
      - .offset:         342
        .size:           2
        .value_kind:     hidden_group_size_y
      - .offset:         344
        .size:           2
        .value_kind:     hidden_group_size_z
      - .offset:         346
        .size:           2
        .value_kind:     hidden_remainder_x
      - .offset:         348
        .size:           2
        .value_kind:     hidden_remainder_y
      - .offset:         350
        .size:           2
        .value_kind:     hidden_remainder_z
      - .offset:         368
        .size:           8
        .value_kind:     hidden_global_offset_x
      - .offset:         376
        .size:           8
        .value_kind:     hidden_global_offset_y
      - .offset:         384
        .size:           8
        .value_kind:     hidden_global_offset_z
      - .offset:         392
        .size:           2
        .value_kind:     hidden_grid_dims
    .group_segment_fixed_size: 0
    .kernarg_segment_align: 8
    .kernarg_segment_size: 584
    .language:       OpenCL C
    .language_version:
      - 2
      - 0
    .max_flat_workgroup_size: 256
    .name:           _ZN2at6native12_GLOBAL__N_143distribution_elementwise_grid_stride_kernelIfLi4EZNS0_9templates4cuda21uniform_and_transformIafPNS_17CUDAGeneratorImplEZZZNS4_16geometric_kernelIS7_EEvRNS_18TensorIteratorBaseEdT_ENKUlvE_clEvENKUlvE0_clEvEUlfE_EEvSA_T1_T2_EUlP25hiprandStatePhilox4_32_10E0_ZNS1_27distribution_nullary_kernelIaf15HIP_vector_typeIfLj4EES7_SJ_SE_EEvSA_SG_RKT3_T4_EUlifE0_EEvlNS_15PhiloxCudaStateESF_SG_
    .private_segment_fixed_size: 0
    .sgpr_count:     58
    .sgpr_spill_count: 0
    .symbol:         _ZN2at6native12_GLOBAL__N_143distribution_elementwise_grid_stride_kernelIfLi4EZNS0_9templates4cuda21uniform_and_transformIafPNS_17CUDAGeneratorImplEZZZNS4_16geometric_kernelIS7_EEvRNS_18TensorIteratorBaseEdT_ENKUlvE_clEvENKUlvE0_clEvEUlfE_EEvSA_T1_T2_EUlP25hiprandStatePhilox4_32_10E0_ZNS1_27distribution_nullary_kernelIaf15HIP_vector_typeIfLj4EES7_SJ_SE_EEvSA_SG_RKT3_T4_EUlifE0_EEvlNS_15PhiloxCudaStateESF_SG_.kd
    .uniform_work_group_size: 1
    .uses_dynamic_stack: false
    .vgpr_count:     45
    .vgpr_spill_count: 0
    .wavefront_size: 32
    .workgroup_processor_mode: 1
  - .args:
      - .offset:         0
        .size:           8
        .value_kind:     by_value
      - .offset:         8
        .size:           32
        .value_kind:     by_value
      - .offset:         40
        .size:           1
        .value_kind:     by_value
      - .offset:         48
        .size:           24
        .value_kind:     by_value
      - .offset:         72
        .size:           4
        .value_kind:     hidden_block_count_x
      - .offset:         76
        .size:           4
        .value_kind:     hidden_block_count_y
      - .offset:         80
        .size:           4
        .value_kind:     hidden_block_count_z
      - .offset:         84
        .size:           2
        .value_kind:     hidden_group_size_x
      - .offset:         86
        .size:           2
        .value_kind:     hidden_group_size_y
      - .offset:         88
        .size:           2
        .value_kind:     hidden_group_size_z
      - .offset:         90
        .size:           2
        .value_kind:     hidden_remainder_x
      - .offset:         92
        .size:           2
        .value_kind:     hidden_remainder_y
      - .offset:         94
        .size:           2
        .value_kind:     hidden_remainder_z
      - .offset:         112
        .size:           8
        .value_kind:     hidden_global_offset_x
      - .offset:         120
        .size:           8
        .value_kind:     hidden_global_offset_y
      - .offset:         128
        .size:           8
        .value_kind:     hidden_global_offset_z
      - .offset:         136
        .size:           2
        .value_kind:     hidden_grid_dims
    .group_segment_fixed_size: 0
    .kernarg_segment_align: 8
    .kernarg_segment_size: 328
    .language:       OpenCL C
    .language_version:
      - 2
      - 0
    .max_flat_workgroup_size: 256
    .name:           _ZN2at6native12_GLOBAL__N_143distribution_elementwise_grid_stride_kernelIfLi4EZNS0_9templates4cuda21uniform_and_transformIifPNS_17CUDAGeneratorImplEZZZNS4_16geometric_kernelIS7_EEvRNS_18TensorIteratorBaseEdT_ENKUlvE_clEvENKUlvE1_clEvEUlfE_EEvSA_T1_T2_EUlP25hiprandStatePhilox4_32_10E_ZNS1_27distribution_nullary_kernelIif15HIP_vector_typeIdLj2EES7_SJ_SE_EEvSA_SG_RKT3_T4_EUlifE_EEvlNS_15PhiloxCudaStateESF_SG_
    .private_segment_fixed_size: 0
    .sgpr_count:     25
    .sgpr_spill_count: 0
    .symbol:         _ZN2at6native12_GLOBAL__N_143distribution_elementwise_grid_stride_kernelIfLi4EZNS0_9templates4cuda21uniform_and_transformIifPNS_17CUDAGeneratorImplEZZZNS4_16geometric_kernelIS7_EEvRNS_18TensorIteratorBaseEdT_ENKUlvE_clEvENKUlvE1_clEvEUlfE_EEvSA_T1_T2_EUlP25hiprandStatePhilox4_32_10E_ZNS1_27distribution_nullary_kernelIif15HIP_vector_typeIdLj2EES7_SJ_SE_EEvSA_SG_RKT3_T4_EUlifE_EEvlNS_15PhiloxCudaStateESF_SG_.kd
    .uniform_work_group_size: 1
    .uses_dynamic_stack: false
    .vgpr_count:     48
    .vgpr_spill_count: 0
    .wavefront_size: 32
    .workgroup_processor_mode: 1
  - .args:
      - .offset:         0
        .size:           8
        .value_kind:     by_value
      - .offset:         8
        .size:           32
        .value_kind:     by_value
      - .offset:         40
        .size:           1
        .value_kind:     by_value
      - .offset:         48
        .size:           280
        .value_kind:     by_value
      - .offset:         328
        .size:           4
        .value_kind:     hidden_block_count_x
      - .offset:         332
        .size:           4
        .value_kind:     hidden_block_count_y
      - .offset:         336
        .size:           4
        .value_kind:     hidden_block_count_z
      - .offset:         340
        .size:           2
        .value_kind:     hidden_group_size_x
      - .offset:         342
        .size:           2
        .value_kind:     hidden_group_size_y
      - .offset:         344
        .size:           2
        .value_kind:     hidden_group_size_z
      - .offset:         346
        .size:           2
        .value_kind:     hidden_remainder_x
      - .offset:         348
        .size:           2
        .value_kind:     hidden_remainder_y
      - .offset:         350
        .size:           2
        .value_kind:     hidden_remainder_z
      - .offset:         368
        .size:           8
        .value_kind:     hidden_global_offset_x
      - .offset:         376
        .size:           8
        .value_kind:     hidden_global_offset_y
      - .offset:         384
        .size:           8
        .value_kind:     hidden_global_offset_z
      - .offset:         392
        .size:           2
        .value_kind:     hidden_grid_dims
    .group_segment_fixed_size: 0
    .kernarg_segment_align: 8
    .kernarg_segment_size: 584
    .language:       OpenCL C
    .language_version:
      - 2
      - 0
    .max_flat_workgroup_size: 256
    .name:           _ZN2at6native12_GLOBAL__N_143distribution_elementwise_grid_stride_kernelIfLi4EZNS0_9templates4cuda21uniform_and_transformIifPNS_17CUDAGeneratorImplEZZZNS4_16geometric_kernelIS7_EEvRNS_18TensorIteratorBaseEdT_ENKUlvE_clEvENKUlvE1_clEvEUlfE_EEvSA_T1_T2_EUlP25hiprandStatePhilox4_32_10E_ZNS1_27distribution_nullary_kernelIif15HIP_vector_typeIdLj2EES7_SJ_SE_EEvSA_SG_RKT3_T4_EUlifE0_EEvlNS_15PhiloxCudaStateESF_SG_
    .private_segment_fixed_size: 0
    .sgpr_count:     58
    .sgpr_spill_count: 0
    .symbol:         _ZN2at6native12_GLOBAL__N_143distribution_elementwise_grid_stride_kernelIfLi4EZNS0_9templates4cuda21uniform_and_transformIifPNS_17CUDAGeneratorImplEZZZNS4_16geometric_kernelIS7_EEvRNS_18TensorIteratorBaseEdT_ENKUlvE_clEvENKUlvE1_clEvEUlfE_EEvSA_T1_T2_EUlP25hiprandStatePhilox4_32_10E_ZNS1_27distribution_nullary_kernelIif15HIP_vector_typeIdLj2EES7_SJ_SE_EEvSA_SG_RKT3_T4_EUlifE0_EEvlNS_15PhiloxCudaStateESF_SG_.kd
    .uniform_work_group_size: 1
    .uses_dynamic_stack: false
    .vgpr_count:     46
    .vgpr_spill_count: 0
    .wavefront_size: 32
    .workgroup_processor_mode: 1
  - .args:
      - .offset:         0
        .size:           8
        .value_kind:     by_value
      - .offset:         8
        .size:           32
        .value_kind:     by_value
      - .offset:         40
        .size:           1
        .value_kind:     by_value
      - .offset:         48
        .size:           24
        .value_kind:     by_value
      - .offset:         72
        .size:           4
        .value_kind:     hidden_block_count_x
      - .offset:         76
        .size:           4
        .value_kind:     hidden_block_count_y
      - .offset:         80
        .size:           4
        .value_kind:     hidden_block_count_z
      - .offset:         84
        .size:           2
        .value_kind:     hidden_group_size_x
      - .offset:         86
        .size:           2
        .value_kind:     hidden_group_size_y
      - .offset:         88
        .size:           2
        .value_kind:     hidden_group_size_z
      - .offset:         90
        .size:           2
        .value_kind:     hidden_remainder_x
      - .offset:         92
        .size:           2
        .value_kind:     hidden_remainder_y
      - .offset:         94
        .size:           2
        .value_kind:     hidden_remainder_z
      - .offset:         112
        .size:           8
        .value_kind:     hidden_global_offset_x
      - .offset:         120
        .size:           8
        .value_kind:     hidden_global_offset_y
      - .offset:         128
        .size:           8
        .value_kind:     hidden_global_offset_z
      - .offset:         136
        .size:           2
        .value_kind:     hidden_grid_dims
    .group_segment_fixed_size: 0
    .kernarg_segment_align: 8
    .kernarg_segment_size: 328
    .language:       OpenCL C
    .language_version:
      - 2
      - 0
    .max_flat_workgroup_size: 256
    .name:           _ZN2at6native12_GLOBAL__N_143distribution_elementwise_grid_stride_kernelIfLi4EZNS0_9templates4cuda21uniform_and_transformIifPNS_17CUDAGeneratorImplEZZZNS4_16geometric_kernelIS7_EEvRNS_18TensorIteratorBaseEdT_ENKUlvE_clEvENKUlvE1_clEvEUlfE_EEvSA_T1_T2_EUlP25hiprandStatePhilox4_32_10E0_ZNS1_27distribution_nullary_kernelIif15HIP_vector_typeIfLj4EES7_SJ_SE_EEvSA_SG_RKT3_T4_EUlifE_EEvlNS_15PhiloxCudaStateESF_SG_
    .private_segment_fixed_size: 0
    .sgpr_count:     25
    .sgpr_spill_count: 0
    .symbol:         _ZN2at6native12_GLOBAL__N_143distribution_elementwise_grid_stride_kernelIfLi4EZNS0_9templates4cuda21uniform_and_transformIifPNS_17CUDAGeneratorImplEZZZNS4_16geometric_kernelIS7_EEvRNS_18TensorIteratorBaseEdT_ENKUlvE_clEvENKUlvE1_clEvEUlfE_EEvSA_T1_T2_EUlP25hiprandStatePhilox4_32_10E0_ZNS1_27distribution_nullary_kernelIif15HIP_vector_typeIfLj4EES7_SJ_SE_EEvSA_SG_RKT3_T4_EUlifE_EEvlNS_15PhiloxCudaStateESF_SG_.kd
    .uniform_work_group_size: 1
    .uses_dynamic_stack: false
    .vgpr_count:     45
    .vgpr_spill_count: 0
    .wavefront_size: 32
    .workgroup_processor_mode: 1
  - .args:
      - .offset:         0
        .size:           8
        .value_kind:     by_value
      - .offset:         8
        .size:           32
        .value_kind:     by_value
      - .offset:         40
        .size:           1
        .value_kind:     by_value
      - .offset:         48
        .size:           280
        .value_kind:     by_value
      - .offset:         328
        .size:           4
        .value_kind:     hidden_block_count_x
      - .offset:         332
        .size:           4
        .value_kind:     hidden_block_count_y
      - .offset:         336
        .size:           4
        .value_kind:     hidden_block_count_z
      - .offset:         340
        .size:           2
        .value_kind:     hidden_group_size_x
      - .offset:         342
        .size:           2
        .value_kind:     hidden_group_size_y
      - .offset:         344
        .size:           2
        .value_kind:     hidden_group_size_z
      - .offset:         346
        .size:           2
        .value_kind:     hidden_remainder_x
      - .offset:         348
        .size:           2
        .value_kind:     hidden_remainder_y
      - .offset:         350
        .size:           2
        .value_kind:     hidden_remainder_z
      - .offset:         368
        .size:           8
        .value_kind:     hidden_global_offset_x
      - .offset:         376
        .size:           8
        .value_kind:     hidden_global_offset_y
      - .offset:         384
        .size:           8
        .value_kind:     hidden_global_offset_z
      - .offset:         392
        .size:           2
        .value_kind:     hidden_grid_dims
    .group_segment_fixed_size: 0
    .kernarg_segment_align: 8
    .kernarg_segment_size: 584
    .language:       OpenCL C
    .language_version:
      - 2
      - 0
    .max_flat_workgroup_size: 256
    .name:           _ZN2at6native12_GLOBAL__N_143distribution_elementwise_grid_stride_kernelIfLi4EZNS0_9templates4cuda21uniform_and_transformIifPNS_17CUDAGeneratorImplEZZZNS4_16geometric_kernelIS7_EEvRNS_18TensorIteratorBaseEdT_ENKUlvE_clEvENKUlvE1_clEvEUlfE_EEvSA_T1_T2_EUlP25hiprandStatePhilox4_32_10E0_ZNS1_27distribution_nullary_kernelIif15HIP_vector_typeIfLj4EES7_SJ_SE_EEvSA_SG_RKT3_T4_EUlifE0_EEvlNS_15PhiloxCudaStateESF_SG_
    .private_segment_fixed_size: 0
    .sgpr_count:     58
    .sgpr_spill_count: 0
    .symbol:         _ZN2at6native12_GLOBAL__N_143distribution_elementwise_grid_stride_kernelIfLi4EZNS0_9templates4cuda21uniform_and_transformIifPNS_17CUDAGeneratorImplEZZZNS4_16geometric_kernelIS7_EEvRNS_18TensorIteratorBaseEdT_ENKUlvE_clEvENKUlvE1_clEvEUlfE_EEvSA_T1_T2_EUlP25hiprandStatePhilox4_32_10E0_ZNS1_27distribution_nullary_kernelIif15HIP_vector_typeIfLj4EES7_SJ_SE_EEvSA_SG_RKT3_T4_EUlifE0_EEvlNS_15PhiloxCudaStateESF_SG_.kd
    .uniform_work_group_size: 1
    .uses_dynamic_stack: false
    .vgpr_count:     45
    .vgpr_spill_count: 0
    .wavefront_size: 32
    .workgroup_processor_mode: 1
  - .args:
      - .offset:         0
        .size:           8
        .value_kind:     by_value
      - .offset:         8
        .size:           32
        .value_kind:     by_value
      - .offset:         40
        .size:           1
        .value_kind:     by_value
      - .offset:         48
        .size:           24
        .value_kind:     by_value
      - .offset:         72
        .size:           4
        .value_kind:     hidden_block_count_x
      - .offset:         76
        .size:           4
        .value_kind:     hidden_block_count_y
      - .offset:         80
        .size:           4
        .value_kind:     hidden_block_count_z
      - .offset:         84
        .size:           2
        .value_kind:     hidden_group_size_x
      - .offset:         86
        .size:           2
        .value_kind:     hidden_group_size_y
      - .offset:         88
        .size:           2
        .value_kind:     hidden_group_size_z
      - .offset:         90
        .size:           2
        .value_kind:     hidden_remainder_x
      - .offset:         92
        .size:           2
        .value_kind:     hidden_remainder_y
      - .offset:         94
        .size:           2
        .value_kind:     hidden_remainder_z
      - .offset:         112
        .size:           8
        .value_kind:     hidden_global_offset_x
      - .offset:         120
        .size:           8
        .value_kind:     hidden_global_offset_y
      - .offset:         128
        .size:           8
        .value_kind:     hidden_global_offset_z
      - .offset:         136
        .size:           2
        .value_kind:     hidden_grid_dims
    .group_segment_fixed_size: 0
    .kernarg_segment_align: 8
    .kernarg_segment_size: 328
    .language:       OpenCL C
    .language_version:
      - 2
      - 0
    .max_flat_workgroup_size: 256
    .name:           _ZN2at6native12_GLOBAL__N_143distribution_elementwise_grid_stride_kernelIfLi4EZNS0_9templates4cuda21uniform_and_transformIlfPNS_17CUDAGeneratorImplEZZZNS4_16geometric_kernelIS7_EEvRNS_18TensorIteratorBaseEdT_ENKUlvE_clEvENKUlvE2_clEvEUlfE_EEvSA_T1_T2_EUlP25hiprandStatePhilox4_32_10E_ZNS1_27distribution_nullary_kernelIlf15HIP_vector_typeIdLj2EES7_SJ_SE_EEvSA_SG_RKT3_T4_EUlifE_EEvlNS_15PhiloxCudaStateESF_SG_
    .private_segment_fixed_size: 0
    .sgpr_count:     25
    .sgpr_spill_count: 0
    .symbol:         _ZN2at6native12_GLOBAL__N_143distribution_elementwise_grid_stride_kernelIfLi4EZNS0_9templates4cuda21uniform_and_transformIlfPNS_17CUDAGeneratorImplEZZZNS4_16geometric_kernelIS7_EEvRNS_18TensorIteratorBaseEdT_ENKUlvE_clEvENKUlvE2_clEvEUlfE_EEvSA_T1_T2_EUlP25hiprandStatePhilox4_32_10E_ZNS1_27distribution_nullary_kernelIlf15HIP_vector_typeIdLj2EES7_SJ_SE_EEvSA_SG_RKT3_T4_EUlifE_EEvlNS_15PhiloxCudaStateESF_SG_.kd
    .uniform_work_group_size: 1
    .uses_dynamic_stack: false
    .vgpr_count:     49
    .vgpr_spill_count: 0
    .wavefront_size: 32
    .workgroup_processor_mode: 1
  - .args:
      - .offset:         0
        .size:           8
        .value_kind:     by_value
      - .offset:         8
        .size:           32
        .value_kind:     by_value
      - .offset:         40
        .size:           1
        .value_kind:     by_value
      - .offset:         48
        .size:           280
        .value_kind:     by_value
      - .offset:         328
        .size:           4
        .value_kind:     hidden_block_count_x
      - .offset:         332
        .size:           4
        .value_kind:     hidden_block_count_y
      - .offset:         336
        .size:           4
        .value_kind:     hidden_block_count_z
      - .offset:         340
        .size:           2
        .value_kind:     hidden_group_size_x
      - .offset:         342
        .size:           2
        .value_kind:     hidden_group_size_y
      - .offset:         344
        .size:           2
        .value_kind:     hidden_group_size_z
      - .offset:         346
        .size:           2
        .value_kind:     hidden_remainder_x
      - .offset:         348
        .size:           2
        .value_kind:     hidden_remainder_y
      - .offset:         350
        .size:           2
        .value_kind:     hidden_remainder_z
      - .offset:         368
        .size:           8
        .value_kind:     hidden_global_offset_x
      - .offset:         376
        .size:           8
        .value_kind:     hidden_global_offset_y
      - .offset:         384
        .size:           8
        .value_kind:     hidden_global_offset_z
      - .offset:         392
        .size:           2
        .value_kind:     hidden_grid_dims
    .group_segment_fixed_size: 0
    .kernarg_segment_align: 8
    .kernarg_segment_size: 584
    .language:       OpenCL C
    .language_version:
      - 2
      - 0
    .max_flat_workgroup_size: 256
    .name:           _ZN2at6native12_GLOBAL__N_143distribution_elementwise_grid_stride_kernelIfLi4EZNS0_9templates4cuda21uniform_and_transformIlfPNS_17CUDAGeneratorImplEZZZNS4_16geometric_kernelIS7_EEvRNS_18TensorIteratorBaseEdT_ENKUlvE_clEvENKUlvE2_clEvEUlfE_EEvSA_T1_T2_EUlP25hiprandStatePhilox4_32_10E_ZNS1_27distribution_nullary_kernelIlf15HIP_vector_typeIdLj2EES7_SJ_SE_EEvSA_SG_RKT3_T4_EUlifE0_EEvlNS_15PhiloxCudaStateESF_SG_
    .private_segment_fixed_size: 0
    .sgpr_count:     58
    .sgpr_spill_count: 0
    .symbol:         _ZN2at6native12_GLOBAL__N_143distribution_elementwise_grid_stride_kernelIfLi4EZNS0_9templates4cuda21uniform_and_transformIlfPNS_17CUDAGeneratorImplEZZZNS4_16geometric_kernelIS7_EEvRNS_18TensorIteratorBaseEdT_ENKUlvE_clEvENKUlvE2_clEvEUlfE_EEvSA_T1_T2_EUlP25hiprandStatePhilox4_32_10E_ZNS1_27distribution_nullary_kernelIlf15HIP_vector_typeIdLj2EES7_SJ_SE_EEvSA_SG_RKT3_T4_EUlifE0_EEvlNS_15PhiloxCudaStateESF_SG_.kd
    .uniform_work_group_size: 1
    .uses_dynamic_stack: false
    .vgpr_count:     47
    .vgpr_spill_count: 0
    .wavefront_size: 32
    .workgroup_processor_mode: 1
  - .args:
      - .offset:         0
        .size:           8
        .value_kind:     by_value
      - .offset:         8
        .size:           32
        .value_kind:     by_value
      - .offset:         40
        .size:           1
        .value_kind:     by_value
      - .offset:         48
        .size:           24
        .value_kind:     by_value
      - .offset:         72
        .size:           4
        .value_kind:     hidden_block_count_x
      - .offset:         76
        .size:           4
        .value_kind:     hidden_block_count_y
      - .offset:         80
        .size:           4
        .value_kind:     hidden_block_count_z
      - .offset:         84
        .size:           2
        .value_kind:     hidden_group_size_x
      - .offset:         86
        .size:           2
        .value_kind:     hidden_group_size_y
      - .offset:         88
        .size:           2
        .value_kind:     hidden_group_size_z
      - .offset:         90
        .size:           2
        .value_kind:     hidden_remainder_x
      - .offset:         92
        .size:           2
        .value_kind:     hidden_remainder_y
      - .offset:         94
        .size:           2
        .value_kind:     hidden_remainder_z
      - .offset:         112
        .size:           8
        .value_kind:     hidden_global_offset_x
      - .offset:         120
        .size:           8
        .value_kind:     hidden_global_offset_y
      - .offset:         128
        .size:           8
        .value_kind:     hidden_global_offset_z
      - .offset:         136
        .size:           2
        .value_kind:     hidden_grid_dims
    .group_segment_fixed_size: 0
    .kernarg_segment_align: 8
    .kernarg_segment_size: 328
    .language:       OpenCL C
    .language_version:
      - 2
      - 0
    .max_flat_workgroup_size: 256
    .name:           _ZN2at6native12_GLOBAL__N_143distribution_elementwise_grid_stride_kernelIfLi4EZNS0_9templates4cuda21uniform_and_transformIlfPNS_17CUDAGeneratorImplEZZZNS4_16geometric_kernelIS7_EEvRNS_18TensorIteratorBaseEdT_ENKUlvE_clEvENKUlvE2_clEvEUlfE_EEvSA_T1_T2_EUlP25hiprandStatePhilox4_32_10E0_ZNS1_27distribution_nullary_kernelIlf15HIP_vector_typeIfLj4EES7_SJ_SE_EEvSA_SG_RKT3_T4_EUlifE_EEvlNS_15PhiloxCudaStateESF_SG_
    .private_segment_fixed_size: 0
    .sgpr_count:     25
    .sgpr_spill_count: 0
    .symbol:         _ZN2at6native12_GLOBAL__N_143distribution_elementwise_grid_stride_kernelIfLi4EZNS0_9templates4cuda21uniform_and_transformIlfPNS_17CUDAGeneratorImplEZZZNS4_16geometric_kernelIS7_EEvRNS_18TensorIteratorBaseEdT_ENKUlvE_clEvENKUlvE2_clEvEUlfE_EEvSA_T1_T2_EUlP25hiprandStatePhilox4_32_10E0_ZNS1_27distribution_nullary_kernelIlf15HIP_vector_typeIfLj4EES7_SJ_SE_EEvSA_SG_RKT3_T4_EUlifE_EEvlNS_15PhiloxCudaStateESF_SG_.kd
    .uniform_work_group_size: 1
    .uses_dynamic_stack: false
    .vgpr_count:     46
    .vgpr_spill_count: 0
    .wavefront_size: 32
    .workgroup_processor_mode: 1
  - .args:
      - .offset:         0
        .size:           8
        .value_kind:     by_value
      - .offset:         8
        .size:           32
        .value_kind:     by_value
      - .offset:         40
        .size:           1
        .value_kind:     by_value
      - .offset:         48
        .size:           280
        .value_kind:     by_value
      - .offset:         328
        .size:           4
        .value_kind:     hidden_block_count_x
      - .offset:         332
        .size:           4
        .value_kind:     hidden_block_count_y
      - .offset:         336
        .size:           4
        .value_kind:     hidden_block_count_z
      - .offset:         340
        .size:           2
        .value_kind:     hidden_group_size_x
      - .offset:         342
        .size:           2
        .value_kind:     hidden_group_size_y
      - .offset:         344
        .size:           2
        .value_kind:     hidden_group_size_z
      - .offset:         346
        .size:           2
        .value_kind:     hidden_remainder_x
      - .offset:         348
        .size:           2
        .value_kind:     hidden_remainder_y
      - .offset:         350
        .size:           2
        .value_kind:     hidden_remainder_z
      - .offset:         368
        .size:           8
        .value_kind:     hidden_global_offset_x
      - .offset:         376
        .size:           8
        .value_kind:     hidden_global_offset_y
      - .offset:         384
        .size:           8
        .value_kind:     hidden_global_offset_z
      - .offset:         392
        .size:           2
        .value_kind:     hidden_grid_dims
    .group_segment_fixed_size: 0
    .kernarg_segment_align: 8
    .kernarg_segment_size: 584
    .language:       OpenCL C
    .language_version:
      - 2
      - 0
    .max_flat_workgroup_size: 256
    .name:           _ZN2at6native12_GLOBAL__N_143distribution_elementwise_grid_stride_kernelIfLi4EZNS0_9templates4cuda21uniform_and_transformIlfPNS_17CUDAGeneratorImplEZZZNS4_16geometric_kernelIS7_EEvRNS_18TensorIteratorBaseEdT_ENKUlvE_clEvENKUlvE2_clEvEUlfE_EEvSA_T1_T2_EUlP25hiprandStatePhilox4_32_10E0_ZNS1_27distribution_nullary_kernelIlf15HIP_vector_typeIfLj4EES7_SJ_SE_EEvSA_SG_RKT3_T4_EUlifE0_EEvlNS_15PhiloxCudaStateESF_SG_
    .private_segment_fixed_size: 0
    .sgpr_count:     58
    .sgpr_spill_count: 0
    .symbol:         _ZN2at6native12_GLOBAL__N_143distribution_elementwise_grid_stride_kernelIfLi4EZNS0_9templates4cuda21uniform_and_transformIlfPNS_17CUDAGeneratorImplEZZZNS4_16geometric_kernelIS7_EEvRNS_18TensorIteratorBaseEdT_ENKUlvE_clEvENKUlvE2_clEvEUlfE_EEvSA_T1_T2_EUlP25hiprandStatePhilox4_32_10E0_ZNS1_27distribution_nullary_kernelIlf15HIP_vector_typeIfLj4EES7_SJ_SE_EEvSA_SG_RKT3_T4_EUlifE0_EEvlNS_15PhiloxCudaStateESF_SG_.kd
    .uniform_work_group_size: 1
    .uses_dynamic_stack: false
    .vgpr_count:     45
    .vgpr_spill_count: 0
    .wavefront_size: 32
    .workgroup_processor_mode: 1
  - .args:
      - .offset:         0
        .size:           8
        .value_kind:     by_value
      - .offset:         8
        .size:           32
        .value_kind:     by_value
      - .offset:         40
        .size:           1
        .value_kind:     by_value
      - .offset:         48
        .size:           24
        .value_kind:     by_value
      - .offset:         72
        .size:           4
        .value_kind:     hidden_block_count_x
      - .offset:         76
        .size:           4
        .value_kind:     hidden_block_count_y
      - .offset:         80
        .size:           4
        .value_kind:     hidden_block_count_z
      - .offset:         84
        .size:           2
        .value_kind:     hidden_group_size_x
      - .offset:         86
        .size:           2
        .value_kind:     hidden_group_size_y
      - .offset:         88
        .size:           2
        .value_kind:     hidden_group_size_z
      - .offset:         90
        .size:           2
        .value_kind:     hidden_remainder_x
      - .offset:         92
        .size:           2
        .value_kind:     hidden_remainder_y
      - .offset:         94
        .size:           2
        .value_kind:     hidden_remainder_z
      - .offset:         112
        .size:           8
        .value_kind:     hidden_global_offset_x
      - .offset:         120
        .size:           8
        .value_kind:     hidden_global_offset_y
      - .offset:         128
        .size:           8
        .value_kind:     hidden_global_offset_z
      - .offset:         136
        .size:           2
        .value_kind:     hidden_grid_dims
    .group_segment_fixed_size: 0
    .kernarg_segment_align: 8
    .kernarg_segment_size: 328
    .language:       OpenCL C
    .language_version:
      - 2
      - 0
    .max_flat_workgroup_size: 256
    .name:           _ZN2at6native12_GLOBAL__N_143distribution_elementwise_grid_stride_kernelIfLi4EZNS0_9templates4cuda21uniform_and_transformIsfPNS_17CUDAGeneratorImplEZZZNS4_16geometric_kernelIS7_EEvRNS_18TensorIteratorBaseEdT_ENKUlvE_clEvENKUlvE3_clEvEUlfE_EEvSA_T1_T2_EUlP25hiprandStatePhilox4_32_10E_ZNS1_27distribution_nullary_kernelIsf15HIP_vector_typeIdLj2EES7_SJ_SE_EEvSA_SG_RKT3_T4_EUlifE_EEvlNS_15PhiloxCudaStateESF_SG_
    .private_segment_fixed_size: 0
    .sgpr_count:     25
    .sgpr_spill_count: 0
    .symbol:         _ZN2at6native12_GLOBAL__N_143distribution_elementwise_grid_stride_kernelIfLi4EZNS0_9templates4cuda21uniform_and_transformIsfPNS_17CUDAGeneratorImplEZZZNS4_16geometric_kernelIS7_EEvRNS_18TensorIteratorBaseEdT_ENKUlvE_clEvENKUlvE3_clEvEUlfE_EEvSA_T1_T2_EUlP25hiprandStatePhilox4_32_10E_ZNS1_27distribution_nullary_kernelIsf15HIP_vector_typeIdLj2EES7_SJ_SE_EEvSA_SG_RKT3_T4_EUlifE_EEvlNS_15PhiloxCudaStateESF_SG_.kd
    .uniform_work_group_size: 1
    .uses_dynamic_stack: false
    .vgpr_count:     48
    .vgpr_spill_count: 0
    .wavefront_size: 32
    .workgroup_processor_mode: 1
  - .args:
      - .offset:         0
        .size:           8
        .value_kind:     by_value
      - .offset:         8
        .size:           32
        .value_kind:     by_value
      - .offset:         40
        .size:           1
        .value_kind:     by_value
      - .offset:         48
        .size:           280
        .value_kind:     by_value
      - .offset:         328
        .size:           4
        .value_kind:     hidden_block_count_x
      - .offset:         332
        .size:           4
        .value_kind:     hidden_block_count_y
      - .offset:         336
        .size:           4
        .value_kind:     hidden_block_count_z
      - .offset:         340
        .size:           2
        .value_kind:     hidden_group_size_x
      - .offset:         342
        .size:           2
        .value_kind:     hidden_group_size_y
      - .offset:         344
        .size:           2
        .value_kind:     hidden_group_size_z
      - .offset:         346
        .size:           2
        .value_kind:     hidden_remainder_x
      - .offset:         348
        .size:           2
        .value_kind:     hidden_remainder_y
      - .offset:         350
        .size:           2
        .value_kind:     hidden_remainder_z
      - .offset:         368
        .size:           8
        .value_kind:     hidden_global_offset_x
      - .offset:         376
        .size:           8
        .value_kind:     hidden_global_offset_y
      - .offset:         384
        .size:           8
        .value_kind:     hidden_global_offset_z
      - .offset:         392
        .size:           2
        .value_kind:     hidden_grid_dims
    .group_segment_fixed_size: 0
    .kernarg_segment_align: 8
    .kernarg_segment_size: 584
    .language:       OpenCL C
    .language_version:
      - 2
      - 0
    .max_flat_workgroup_size: 256
    .name:           _ZN2at6native12_GLOBAL__N_143distribution_elementwise_grid_stride_kernelIfLi4EZNS0_9templates4cuda21uniform_and_transformIsfPNS_17CUDAGeneratorImplEZZZNS4_16geometric_kernelIS7_EEvRNS_18TensorIteratorBaseEdT_ENKUlvE_clEvENKUlvE3_clEvEUlfE_EEvSA_T1_T2_EUlP25hiprandStatePhilox4_32_10E_ZNS1_27distribution_nullary_kernelIsf15HIP_vector_typeIdLj2EES7_SJ_SE_EEvSA_SG_RKT3_T4_EUlifE0_EEvlNS_15PhiloxCudaStateESF_SG_
    .private_segment_fixed_size: 0
    .sgpr_count:     58
    .sgpr_spill_count: 0
    .symbol:         _ZN2at6native12_GLOBAL__N_143distribution_elementwise_grid_stride_kernelIfLi4EZNS0_9templates4cuda21uniform_and_transformIsfPNS_17CUDAGeneratorImplEZZZNS4_16geometric_kernelIS7_EEvRNS_18TensorIteratorBaseEdT_ENKUlvE_clEvENKUlvE3_clEvEUlfE_EEvSA_T1_T2_EUlP25hiprandStatePhilox4_32_10E_ZNS1_27distribution_nullary_kernelIsf15HIP_vector_typeIdLj2EES7_SJ_SE_EEvSA_SG_RKT3_T4_EUlifE0_EEvlNS_15PhiloxCudaStateESF_SG_.kd
    .uniform_work_group_size: 1
    .uses_dynamic_stack: false
    .vgpr_count:     46
    .vgpr_spill_count: 0
    .wavefront_size: 32
    .workgroup_processor_mode: 1
  - .args:
      - .offset:         0
        .size:           8
        .value_kind:     by_value
      - .offset:         8
        .size:           32
        .value_kind:     by_value
      - .offset:         40
        .size:           1
        .value_kind:     by_value
      - .offset:         48
        .size:           24
        .value_kind:     by_value
      - .offset:         72
        .size:           4
        .value_kind:     hidden_block_count_x
      - .offset:         76
        .size:           4
        .value_kind:     hidden_block_count_y
      - .offset:         80
        .size:           4
        .value_kind:     hidden_block_count_z
      - .offset:         84
        .size:           2
        .value_kind:     hidden_group_size_x
      - .offset:         86
        .size:           2
        .value_kind:     hidden_group_size_y
      - .offset:         88
        .size:           2
        .value_kind:     hidden_group_size_z
      - .offset:         90
        .size:           2
        .value_kind:     hidden_remainder_x
      - .offset:         92
        .size:           2
        .value_kind:     hidden_remainder_y
      - .offset:         94
        .size:           2
        .value_kind:     hidden_remainder_z
      - .offset:         112
        .size:           8
        .value_kind:     hidden_global_offset_x
      - .offset:         120
        .size:           8
        .value_kind:     hidden_global_offset_y
      - .offset:         128
        .size:           8
        .value_kind:     hidden_global_offset_z
      - .offset:         136
        .size:           2
        .value_kind:     hidden_grid_dims
    .group_segment_fixed_size: 0
    .kernarg_segment_align: 8
    .kernarg_segment_size: 328
    .language:       OpenCL C
    .language_version:
      - 2
      - 0
    .max_flat_workgroup_size: 256
    .name:           _ZN2at6native12_GLOBAL__N_143distribution_elementwise_grid_stride_kernelIfLi4EZNS0_9templates4cuda21uniform_and_transformIsfPNS_17CUDAGeneratorImplEZZZNS4_16geometric_kernelIS7_EEvRNS_18TensorIteratorBaseEdT_ENKUlvE_clEvENKUlvE3_clEvEUlfE_EEvSA_T1_T2_EUlP25hiprandStatePhilox4_32_10E0_ZNS1_27distribution_nullary_kernelIsf15HIP_vector_typeIfLj4EES7_SJ_SE_EEvSA_SG_RKT3_T4_EUlifE_EEvlNS_15PhiloxCudaStateESF_SG_
    .private_segment_fixed_size: 0
    .sgpr_count:     25
    .sgpr_spill_count: 0
    .symbol:         _ZN2at6native12_GLOBAL__N_143distribution_elementwise_grid_stride_kernelIfLi4EZNS0_9templates4cuda21uniform_and_transformIsfPNS_17CUDAGeneratorImplEZZZNS4_16geometric_kernelIS7_EEvRNS_18TensorIteratorBaseEdT_ENKUlvE_clEvENKUlvE3_clEvEUlfE_EEvSA_T1_T2_EUlP25hiprandStatePhilox4_32_10E0_ZNS1_27distribution_nullary_kernelIsf15HIP_vector_typeIfLj4EES7_SJ_SE_EEvSA_SG_RKT3_T4_EUlifE_EEvlNS_15PhiloxCudaStateESF_SG_.kd
    .uniform_work_group_size: 1
    .uses_dynamic_stack: false
    .vgpr_count:     45
    .vgpr_spill_count: 0
    .wavefront_size: 32
    .workgroup_processor_mode: 1
  - .args:
      - .offset:         0
        .size:           8
        .value_kind:     by_value
      - .offset:         8
        .size:           32
        .value_kind:     by_value
      - .offset:         40
        .size:           1
        .value_kind:     by_value
      - .offset:         48
        .size:           280
        .value_kind:     by_value
      - .offset:         328
        .size:           4
        .value_kind:     hidden_block_count_x
      - .offset:         332
        .size:           4
        .value_kind:     hidden_block_count_y
      - .offset:         336
        .size:           4
        .value_kind:     hidden_block_count_z
      - .offset:         340
        .size:           2
        .value_kind:     hidden_group_size_x
      - .offset:         342
        .size:           2
        .value_kind:     hidden_group_size_y
      - .offset:         344
        .size:           2
        .value_kind:     hidden_group_size_z
      - .offset:         346
        .size:           2
        .value_kind:     hidden_remainder_x
      - .offset:         348
        .size:           2
        .value_kind:     hidden_remainder_y
      - .offset:         350
        .size:           2
        .value_kind:     hidden_remainder_z
      - .offset:         368
        .size:           8
        .value_kind:     hidden_global_offset_x
      - .offset:         376
        .size:           8
        .value_kind:     hidden_global_offset_y
      - .offset:         384
        .size:           8
        .value_kind:     hidden_global_offset_z
      - .offset:         392
        .size:           2
        .value_kind:     hidden_grid_dims
    .group_segment_fixed_size: 0
    .kernarg_segment_align: 8
    .kernarg_segment_size: 584
    .language:       OpenCL C
    .language_version:
      - 2
      - 0
    .max_flat_workgroup_size: 256
    .name:           _ZN2at6native12_GLOBAL__N_143distribution_elementwise_grid_stride_kernelIfLi4EZNS0_9templates4cuda21uniform_and_transformIsfPNS_17CUDAGeneratorImplEZZZNS4_16geometric_kernelIS7_EEvRNS_18TensorIteratorBaseEdT_ENKUlvE_clEvENKUlvE3_clEvEUlfE_EEvSA_T1_T2_EUlP25hiprandStatePhilox4_32_10E0_ZNS1_27distribution_nullary_kernelIsf15HIP_vector_typeIfLj4EES7_SJ_SE_EEvSA_SG_RKT3_T4_EUlifE0_EEvlNS_15PhiloxCudaStateESF_SG_
    .private_segment_fixed_size: 0
    .sgpr_count:     58
    .sgpr_spill_count: 0
    .symbol:         _ZN2at6native12_GLOBAL__N_143distribution_elementwise_grid_stride_kernelIfLi4EZNS0_9templates4cuda21uniform_and_transformIsfPNS_17CUDAGeneratorImplEZZZNS4_16geometric_kernelIS7_EEvRNS_18TensorIteratorBaseEdT_ENKUlvE_clEvENKUlvE3_clEvEUlfE_EEvSA_T1_T2_EUlP25hiprandStatePhilox4_32_10E0_ZNS1_27distribution_nullary_kernelIsf15HIP_vector_typeIfLj4EES7_SJ_SE_EEvSA_SG_RKT3_T4_EUlifE0_EEvlNS_15PhiloxCudaStateESF_SG_.kd
    .uniform_work_group_size: 1
    .uses_dynamic_stack: false
    .vgpr_count:     45
    .vgpr_spill_count: 0
    .wavefront_size: 32
    .workgroup_processor_mode: 1
  - .args:
      - .offset:         0
        .size:           8
        .value_kind:     by_value
      - .offset:         8
        .size:           32
        .value_kind:     by_value
      - .offset:         40
        .size:           1
        .value_kind:     by_value
      - .offset:         48
        .size:           24
        .value_kind:     by_value
      - .offset:         72
        .size:           4
        .value_kind:     hidden_block_count_x
      - .offset:         76
        .size:           4
        .value_kind:     hidden_block_count_y
      - .offset:         80
        .size:           4
        .value_kind:     hidden_block_count_z
      - .offset:         84
        .size:           2
        .value_kind:     hidden_group_size_x
      - .offset:         86
        .size:           2
        .value_kind:     hidden_group_size_y
      - .offset:         88
        .size:           2
        .value_kind:     hidden_group_size_z
      - .offset:         90
        .size:           2
        .value_kind:     hidden_remainder_x
      - .offset:         92
        .size:           2
        .value_kind:     hidden_remainder_y
      - .offset:         94
        .size:           2
        .value_kind:     hidden_remainder_z
      - .offset:         112
        .size:           8
        .value_kind:     hidden_global_offset_x
      - .offset:         120
        .size:           8
        .value_kind:     hidden_global_offset_y
      - .offset:         128
        .size:           8
        .value_kind:     hidden_global_offset_z
      - .offset:         136
        .size:           2
        .value_kind:     hidden_grid_dims
    .group_segment_fixed_size: 0
    .kernarg_segment_align: 8
    .kernarg_segment_size: 328
    .language:       OpenCL C
    .language_version:
      - 2
      - 0
    .max_flat_workgroup_size: 256
    .name:           _ZN2at6native12_GLOBAL__N_143distribution_elementwise_grid_stride_kernelIdLi2EZNS0_9templates4cuda21uniform_and_transformIddPNS_17CUDAGeneratorImplEZZZNS4_16geometric_kernelIS7_EEvRNS_18TensorIteratorBaseEdT_ENKUlvE_clEvENKUlvE4_clEvEUldE_EEvSA_T1_T2_EUlP25hiprandStatePhilox4_32_10E_ZNS1_27distribution_nullary_kernelIdd15HIP_vector_typeIdLj2EES7_SJ_SE_EEvSA_SG_RKT3_T4_EUlidE_EEvlNS_15PhiloxCudaStateESF_SG_
    .private_segment_fixed_size: 0
    .sgpr_count:     37
    .sgpr_spill_count: 0
    .symbol:         _ZN2at6native12_GLOBAL__N_143distribution_elementwise_grid_stride_kernelIdLi2EZNS0_9templates4cuda21uniform_and_transformIddPNS_17CUDAGeneratorImplEZZZNS4_16geometric_kernelIS7_EEvRNS_18TensorIteratorBaseEdT_ENKUlvE_clEvENKUlvE4_clEvEUldE_EEvSA_T1_T2_EUlP25hiprandStatePhilox4_32_10E_ZNS1_27distribution_nullary_kernelIdd15HIP_vector_typeIdLj2EES7_SJ_SE_EEvSA_SG_RKT3_T4_EUlidE_EEvlNS_15PhiloxCudaStateESF_SG_.kd
    .uniform_work_group_size: 1
    .uses_dynamic_stack: false
    .vgpr_count:     61
    .vgpr_spill_count: 0
    .wavefront_size: 32
    .workgroup_processor_mode: 1
  - .args:
      - .offset:         0
        .size:           8
        .value_kind:     by_value
      - .offset:         8
        .size:           32
        .value_kind:     by_value
      - .offset:         40
        .size:           1
        .value_kind:     by_value
      - .offset:         48
        .size:           280
        .value_kind:     by_value
      - .offset:         328
        .size:           4
        .value_kind:     hidden_block_count_x
      - .offset:         332
        .size:           4
        .value_kind:     hidden_block_count_y
      - .offset:         336
        .size:           4
        .value_kind:     hidden_block_count_z
      - .offset:         340
        .size:           2
        .value_kind:     hidden_group_size_x
      - .offset:         342
        .size:           2
        .value_kind:     hidden_group_size_y
      - .offset:         344
        .size:           2
        .value_kind:     hidden_group_size_z
      - .offset:         346
        .size:           2
        .value_kind:     hidden_remainder_x
      - .offset:         348
        .size:           2
        .value_kind:     hidden_remainder_y
      - .offset:         350
        .size:           2
        .value_kind:     hidden_remainder_z
      - .offset:         368
        .size:           8
        .value_kind:     hidden_global_offset_x
      - .offset:         376
        .size:           8
        .value_kind:     hidden_global_offset_y
      - .offset:         384
        .size:           8
        .value_kind:     hidden_global_offset_z
      - .offset:         392
        .size:           2
        .value_kind:     hidden_grid_dims
    .group_segment_fixed_size: 0
    .kernarg_segment_align: 8
    .kernarg_segment_size: 584
    .language:       OpenCL C
    .language_version:
      - 2
      - 0
    .max_flat_workgroup_size: 256
    .name:           _ZN2at6native12_GLOBAL__N_143distribution_elementwise_grid_stride_kernelIdLi2EZNS0_9templates4cuda21uniform_and_transformIddPNS_17CUDAGeneratorImplEZZZNS4_16geometric_kernelIS7_EEvRNS_18TensorIteratorBaseEdT_ENKUlvE_clEvENKUlvE4_clEvEUldE_EEvSA_T1_T2_EUlP25hiprandStatePhilox4_32_10E_ZNS1_27distribution_nullary_kernelIdd15HIP_vector_typeIdLj2EES7_SJ_SE_EEvSA_SG_RKT3_T4_EUlidE0_EEvlNS_15PhiloxCudaStateESF_SG_
    .private_segment_fixed_size: 0
    .sgpr_count:     74
    .sgpr_spill_count: 0
    .symbol:         _ZN2at6native12_GLOBAL__N_143distribution_elementwise_grid_stride_kernelIdLi2EZNS0_9templates4cuda21uniform_and_transformIddPNS_17CUDAGeneratorImplEZZZNS4_16geometric_kernelIS7_EEvRNS_18TensorIteratorBaseEdT_ENKUlvE_clEvENKUlvE4_clEvEUldE_EEvSA_T1_T2_EUlP25hiprandStatePhilox4_32_10E_ZNS1_27distribution_nullary_kernelIdd15HIP_vector_typeIdLj2EES7_SJ_SE_EEvSA_SG_RKT3_T4_EUlidE0_EEvlNS_15PhiloxCudaStateESF_SG_.kd
    .uniform_work_group_size: 1
    .uses_dynamic_stack: false
    .vgpr_count:     58
    .vgpr_spill_count: 0
    .wavefront_size: 32
    .workgroup_processor_mode: 1
  - .args:
      - .offset:         0
        .size:           8
        .value_kind:     by_value
      - .offset:         8
        .size:           32
        .value_kind:     by_value
      - .offset:         40
        .size:           1
        .value_kind:     by_value
      - .offset:         48
        .size:           24
        .value_kind:     by_value
      - .offset:         72
        .size:           4
        .value_kind:     hidden_block_count_x
      - .offset:         76
        .size:           4
        .value_kind:     hidden_block_count_y
      - .offset:         80
        .size:           4
        .value_kind:     hidden_block_count_z
      - .offset:         84
        .size:           2
        .value_kind:     hidden_group_size_x
      - .offset:         86
        .size:           2
        .value_kind:     hidden_group_size_y
      - .offset:         88
        .size:           2
        .value_kind:     hidden_group_size_z
      - .offset:         90
        .size:           2
        .value_kind:     hidden_remainder_x
      - .offset:         92
        .size:           2
        .value_kind:     hidden_remainder_y
      - .offset:         94
        .size:           2
        .value_kind:     hidden_remainder_z
      - .offset:         112
        .size:           8
        .value_kind:     hidden_global_offset_x
      - .offset:         120
        .size:           8
        .value_kind:     hidden_global_offset_y
      - .offset:         128
        .size:           8
        .value_kind:     hidden_global_offset_z
      - .offset:         136
        .size:           2
        .value_kind:     hidden_grid_dims
    .group_segment_fixed_size: 0
    .kernarg_segment_align: 8
    .kernarg_segment_size: 328
    .language:       OpenCL C
    .language_version:
      - 2
      - 0
    .max_flat_workgroup_size: 256
    .name:           _ZN2at6native12_GLOBAL__N_143distribution_elementwise_grid_stride_kernelIdLi2EZNS0_9templates4cuda21uniform_and_transformIddPNS_17CUDAGeneratorImplEZZZNS4_16geometric_kernelIS7_EEvRNS_18TensorIteratorBaseEdT_ENKUlvE_clEvENKUlvE4_clEvEUldE_EEvSA_T1_T2_EUlP25hiprandStatePhilox4_32_10E0_ZNS1_27distribution_nullary_kernelIdd15HIP_vector_typeIfLj4EES7_SJ_SE_EEvSA_SG_RKT3_T4_EUlidE_EEvlNS_15PhiloxCudaStateESF_SG_
    .private_segment_fixed_size: 0
    .sgpr_count:     37
    .sgpr_spill_count: 0
    .symbol:         _ZN2at6native12_GLOBAL__N_143distribution_elementwise_grid_stride_kernelIdLi2EZNS0_9templates4cuda21uniform_and_transformIddPNS_17CUDAGeneratorImplEZZZNS4_16geometric_kernelIS7_EEvRNS_18TensorIteratorBaseEdT_ENKUlvE_clEvENKUlvE4_clEvEUldE_EEvSA_T1_T2_EUlP25hiprandStatePhilox4_32_10E0_ZNS1_27distribution_nullary_kernelIdd15HIP_vector_typeIfLj4EES7_SJ_SE_EEvSA_SG_RKT3_T4_EUlidE_EEvlNS_15PhiloxCudaStateESF_SG_.kd
    .uniform_work_group_size: 1
    .uses_dynamic_stack: false
    .vgpr_count:     60
    .vgpr_spill_count: 0
    .wavefront_size: 32
    .workgroup_processor_mode: 1
  - .args:
      - .offset:         0
        .size:           8
        .value_kind:     by_value
      - .offset:         8
        .size:           32
        .value_kind:     by_value
      - .offset:         40
        .size:           1
        .value_kind:     by_value
      - .offset:         48
        .size:           280
        .value_kind:     by_value
      - .offset:         328
        .size:           4
        .value_kind:     hidden_block_count_x
      - .offset:         332
        .size:           4
        .value_kind:     hidden_block_count_y
      - .offset:         336
        .size:           4
        .value_kind:     hidden_block_count_z
      - .offset:         340
        .size:           2
        .value_kind:     hidden_group_size_x
      - .offset:         342
        .size:           2
        .value_kind:     hidden_group_size_y
      - .offset:         344
        .size:           2
        .value_kind:     hidden_group_size_z
      - .offset:         346
        .size:           2
        .value_kind:     hidden_remainder_x
      - .offset:         348
        .size:           2
        .value_kind:     hidden_remainder_y
      - .offset:         350
        .size:           2
        .value_kind:     hidden_remainder_z
      - .offset:         368
        .size:           8
        .value_kind:     hidden_global_offset_x
      - .offset:         376
        .size:           8
        .value_kind:     hidden_global_offset_y
      - .offset:         384
        .size:           8
        .value_kind:     hidden_global_offset_z
      - .offset:         392
        .size:           2
        .value_kind:     hidden_grid_dims
    .group_segment_fixed_size: 0
    .kernarg_segment_align: 8
    .kernarg_segment_size: 584
    .language:       OpenCL C
    .language_version:
      - 2
      - 0
    .max_flat_workgroup_size: 256
    .name:           _ZN2at6native12_GLOBAL__N_143distribution_elementwise_grid_stride_kernelIdLi2EZNS0_9templates4cuda21uniform_and_transformIddPNS_17CUDAGeneratorImplEZZZNS4_16geometric_kernelIS7_EEvRNS_18TensorIteratorBaseEdT_ENKUlvE_clEvENKUlvE4_clEvEUldE_EEvSA_T1_T2_EUlP25hiprandStatePhilox4_32_10E0_ZNS1_27distribution_nullary_kernelIdd15HIP_vector_typeIfLj4EES7_SJ_SE_EEvSA_SG_RKT3_T4_EUlidE0_EEvlNS_15PhiloxCudaStateESF_SG_
    .private_segment_fixed_size: 0
    .sgpr_count:     74
    .sgpr_spill_count: 0
    .symbol:         _ZN2at6native12_GLOBAL__N_143distribution_elementwise_grid_stride_kernelIdLi2EZNS0_9templates4cuda21uniform_and_transformIddPNS_17CUDAGeneratorImplEZZZNS4_16geometric_kernelIS7_EEvRNS_18TensorIteratorBaseEdT_ENKUlvE_clEvENKUlvE4_clEvEUldE_EEvSA_T1_T2_EUlP25hiprandStatePhilox4_32_10E0_ZNS1_27distribution_nullary_kernelIdd15HIP_vector_typeIfLj4EES7_SJ_SE_EEvSA_SG_RKT3_T4_EUlidE0_EEvlNS_15PhiloxCudaStateESF_SG_.kd
    .uniform_work_group_size: 1
    .uses_dynamic_stack: false
    .vgpr_count:     60
    .vgpr_spill_count: 0
    .wavefront_size: 32
    .workgroup_processor_mode: 1
  - .args:
      - .offset:         0
        .size:           8
        .value_kind:     by_value
      - .offset:         8
        .size:           32
        .value_kind:     by_value
      - .offset:         40
        .size:           1
        .value_kind:     by_value
      - .offset:         48
        .size:           24
        .value_kind:     by_value
      - .offset:         72
        .size:           4
        .value_kind:     hidden_block_count_x
      - .offset:         76
        .size:           4
        .value_kind:     hidden_block_count_y
      - .offset:         80
        .size:           4
        .value_kind:     hidden_block_count_z
      - .offset:         84
        .size:           2
        .value_kind:     hidden_group_size_x
      - .offset:         86
        .size:           2
        .value_kind:     hidden_group_size_y
      - .offset:         88
        .size:           2
        .value_kind:     hidden_group_size_z
      - .offset:         90
        .size:           2
        .value_kind:     hidden_remainder_x
      - .offset:         92
        .size:           2
        .value_kind:     hidden_remainder_y
      - .offset:         94
        .size:           2
        .value_kind:     hidden_remainder_z
      - .offset:         112
        .size:           8
        .value_kind:     hidden_global_offset_x
      - .offset:         120
        .size:           8
        .value_kind:     hidden_global_offset_y
      - .offset:         128
        .size:           8
        .value_kind:     hidden_global_offset_z
      - .offset:         136
        .size:           2
        .value_kind:     hidden_grid_dims
    .group_segment_fixed_size: 0
    .kernarg_segment_align: 8
    .kernarg_segment_size: 328
    .language:       OpenCL C
    .language_version:
      - 2
      - 0
    .max_flat_workgroup_size: 256
    .name:           _ZN2at6native12_GLOBAL__N_143distribution_elementwise_grid_stride_kernelIfLi4EZNS0_9templates4cuda21uniform_and_transformIffPNS_17CUDAGeneratorImplEZZZNS4_16geometric_kernelIS7_EEvRNS_18TensorIteratorBaseEdT_ENKUlvE_clEvENKUlvE5_clEvEUlfE_EEvSA_T1_T2_EUlP25hiprandStatePhilox4_32_10E_ZNS1_27distribution_nullary_kernelIff15HIP_vector_typeIdLj2EES7_SJ_SE_EEvSA_SG_RKT3_T4_EUlifE_EEvlNS_15PhiloxCudaStateESF_SG_
    .private_segment_fixed_size: 0
    .sgpr_count:     25
    .sgpr_spill_count: 0
    .symbol:         _ZN2at6native12_GLOBAL__N_143distribution_elementwise_grid_stride_kernelIfLi4EZNS0_9templates4cuda21uniform_and_transformIffPNS_17CUDAGeneratorImplEZZZNS4_16geometric_kernelIS7_EEvRNS_18TensorIteratorBaseEdT_ENKUlvE_clEvENKUlvE5_clEvEUlfE_EEvSA_T1_T2_EUlP25hiprandStatePhilox4_32_10E_ZNS1_27distribution_nullary_kernelIff15HIP_vector_typeIdLj2EES7_SJ_SE_EEvSA_SG_RKT3_T4_EUlifE_EEvlNS_15PhiloxCudaStateESF_SG_.kd
    .uniform_work_group_size: 1
    .uses_dynamic_stack: false
    .vgpr_count:     48
    .vgpr_spill_count: 0
    .wavefront_size: 32
    .workgroup_processor_mode: 1
  - .args:
      - .offset:         0
        .size:           8
        .value_kind:     by_value
      - .offset:         8
        .size:           32
        .value_kind:     by_value
      - .offset:         40
        .size:           1
        .value_kind:     by_value
      - .offset:         48
        .size:           280
        .value_kind:     by_value
      - .offset:         328
        .size:           4
        .value_kind:     hidden_block_count_x
      - .offset:         332
        .size:           4
        .value_kind:     hidden_block_count_y
      - .offset:         336
        .size:           4
        .value_kind:     hidden_block_count_z
      - .offset:         340
        .size:           2
        .value_kind:     hidden_group_size_x
      - .offset:         342
        .size:           2
        .value_kind:     hidden_group_size_y
      - .offset:         344
        .size:           2
        .value_kind:     hidden_group_size_z
      - .offset:         346
        .size:           2
        .value_kind:     hidden_remainder_x
      - .offset:         348
        .size:           2
        .value_kind:     hidden_remainder_y
      - .offset:         350
        .size:           2
        .value_kind:     hidden_remainder_z
      - .offset:         368
        .size:           8
        .value_kind:     hidden_global_offset_x
      - .offset:         376
        .size:           8
        .value_kind:     hidden_global_offset_y
      - .offset:         384
        .size:           8
        .value_kind:     hidden_global_offset_z
      - .offset:         392
        .size:           2
        .value_kind:     hidden_grid_dims
    .group_segment_fixed_size: 0
    .kernarg_segment_align: 8
    .kernarg_segment_size: 584
    .language:       OpenCL C
    .language_version:
      - 2
      - 0
    .max_flat_workgroup_size: 256
    .name:           _ZN2at6native12_GLOBAL__N_143distribution_elementwise_grid_stride_kernelIfLi4EZNS0_9templates4cuda21uniform_and_transformIffPNS_17CUDAGeneratorImplEZZZNS4_16geometric_kernelIS7_EEvRNS_18TensorIteratorBaseEdT_ENKUlvE_clEvENKUlvE5_clEvEUlfE_EEvSA_T1_T2_EUlP25hiprandStatePhilox4_32_10E_ZNS1_27distribution_nullary_kernelIff15HIP_vector_typeIdLj2EES7_SJ_SE_EEvSA_SG_RKT3_T4_EUlifE0_EEvlNS_15PhiloxCudaStateESF_SG_
    .private_segment_fixed_size: 0
    .sgpr_count:     58
    .sgpr_spill_count: 0
    .symbol:         _ZN2at6native12_GLOBAL__N_143distribution_elementwise_grid_stride_kernelIfLi4EZNS0_9templates4cuda21uniform_and_transformIffPNS_17CUDAGeneratorImplEZZZNS4_16geometric_kernelIS7_EEvRNS_18TensorIteratorBaseEdT_ENKUlvE_clEvENKUlvE5_clEvEUlfE_EEvSA_T1_T2_EUlP25hiprandStatePhilox4_32_10E_ZNS1_27distribution_nullary_kernelIff15HIP_vector_typeIdLj2EES7_SJ_SE_EEvSA_SG_RKT3_T4_EUlifE0_EEvlNS_15PhiloxCudaStateESF_SG_.kd
    .uniform_work_group_size: 1
    .uses_dynamic_stack: false
    .vgpr_count:     46
    .vgpr_spill_count: 0
    .wavefront_size: 32
    .workgroup_processor_mode: 1
  - .args:
      - .offset:         0
        .size:           8
        .value_kind:     by_value
      - .offset:         8
        .size:           32
        .value_kind:     by_value
      - .offset:         40
        .size:           1
        .value_kind:     by_value
      - .offset:         48
        .size:           24
        .value_kind:     by_value
      - .offset:         72
        .size:           4
        .value_kind:     hidden_block_count_x
      - .offset:         76
        .size:           4
        .value_kind:     hidden_block_count_y
      - .offset:         80
        .size:           4
        .value_kind:     hidden_block_count_z
      - .offset:         84
        .size:           2
        .value_kind:     hidden_group_size_x
      - .offset:         86
        .size:           2
        .value_kind:     hidden_group_size_y
      - .offset:         88
        .size:           2
        .value_kind:     hidden_group_size_z
      - .offset:         90
        .size:           2
        .value_kind:     hidden_remainder_x
      - .offset:         92
        .size:           2
        .value_kind:     hidden_remainder_y
      - .offset:         94
        .size:           2
        .value_kind:     hidden_remainder_z
      - .offset:         112
        .size:           8
        .value_kind:     hidden_global_offset_x
      - .offset:         120
        .size:           8
        .value_kind:     hidden_global_offset_y
      - .offset:         128
        .size:           8
        .value_kind:     hidden_global_offset_z
      - .offset:         136
        .size:           2
        .value_kind:     hidden_grid_dims
    .group_segment_fixed_size: 0
    .kernarg_segment_align: 8
    .kernarg_segment_size: 328
    .language:       OpenCL C
    .language_version:
      - 2
      - 0
    .max_flat_workgroup_size: 256
    .name:           _ZN2at6native12_GLOBAL__N_143distribution_elementwise_grid_stride_kernelIfLi4EZNS0_9templates4cuda21uniform_and_transformIffPNS_17CUDAGeneratorImplEZZZNS4_16geometric_kernelIS7_EEvRNS_18TensorIteratorBaseEdT_ENKUlvE_clEvENKUlvE5_clEvEUlfE_EEvSA_T1_T2_EUlP25hiprandStatePhilox4_32_10E0_ZNS1_27distribution_nullary_kernelIff15HIP_vector_typeIfLj4EES7_SJ_SE_EEvSA_SG_RKT3_T4_EUlifE_EEvlNS_15PhiloxCudaStateESF_SG_
    .private_segment_fixed_size: 0
    .sgpr_count:     25
    .sgpr_spill_count: 0
    .symbol:         _ZN2at6native12_GLOBAL__N_143distribution_elementwise_grid_stride_kernelIfLi4EZNS0_9templates4cuda21uniform_and_transformIffPNS_17CUDAGeneratorImplEZZZNS4_16geometric_kernelIS7_EEvRNS_18TensorIteratorBaseEdT_ENKUlvE_clEvENKUlvE5_clEvEUlfE_EEvSA_T1_T2_EUlP25hiprandStatePhilox4_32_10E0_ZNS1_27distribution_nullary_kernelIff15HIP_vector_typeIfLj4EES7_SJ_SE_EEvSA_SG_RKT3_T4_EUlifE_EEvlNS_15PhiloxCudaStateESF_SG_.kd
    .uniform_work_group_size: 1
    .uses_dynamic_stack: false
    .vgpr_count:     45
    .vgpr_spill_count: 0
    .wavefront_size: 32
    .workgroup_processor_mode: 1
  - .args:
      - .offset:         0
        .size:           8
        .value_kind:     by_value
      - .offset:         8
        .size:           32
        .value_kind:     by_value
      - .offset:         40
        .size:           1
        .value_kind:     by_value
      - .offset:         48
        .size:           280
        .value_kind:     by_value
      - .offset:         328
        .size:           4
        .value_kind:     hidden_block_count_x
      - .offset:         332
        .size:           4
        .value_kind:     hidden_block_count_y
      - .offset:         336
        .size:           4
        .value_kind:     hidden_block_count_z
      - .offset:         340
        .size:           2
        .value_kind:     hidden_group_size_x
      - .offset:         342
        .size:           2
        .value_kind:     hidden_group_size_y
      - .offset:         344
        .size:           2
        .value_kind:     hidden_group_size_z
      - .offset:         346
        .size:           2
        .value_kind:     hidden_remainder_x
      - .offset:         348
        .size:           2
        .value_kind:     hidden_remainder_y
      - .offset:         350
        .size:           2
        .value_kind:     hidden_remainder_z
      - .offset:         368
        .size:           8
        .value_kind:     hidden_global_offset_x
      - .offset:         376
        .size:           8
        .value_kind:     hidden_global_offset_y
      - .offset:         384
        .size:           8
        .value_kind:     hidden_global_offset_z
      - .offset:         392
        .size:           2
        .value_kind:     hidden_grid_dims
    .group_segment_fixed_size: 0
    .kernarg_segment_align: 8
    .kernarg_segment_size: 584
    .language:       OpenCL C
    .language_version:
      - 2
      - 0
    .max_flat_workgroup_size: 256
    .name:           _ZN2at6native12_GLOBAL__N_143distribution_elementwise_grid_stride_kernelIfLi4EZNS0_9templates4cuda21uniform_and_transformIffPNS_17CUDAGeneratorImplEZZZNS4_16geometric_kernelIS7_EEvRNS_18TensorIteratorBaseEdT_ENKUlvE_clEvENKUlvE5_clEvEUlfE_EEvSA_T1_T2_EUlP25hiprandStatePhilox4_32_10E0_ZNS1_27distribution_nullary_kernelIff15HIP_vector_typeIfLj4EES7_SJ_SE_EEvSA_SG_RKT3_T4_EUlifE0_EEvlNS_15PhiloxCudaStateESF_SG_
    .private_segment_fixed_size: 0
    .sgpr_count:     58
    .sgpr_spill_count: 0
    .symbol:         _ZN2at6native12_GLOBAL__N_143distribution_elementwise_grid_stride_kernelIfLi4EZNS0_9templates4cuda21uniform_and_transformIffPNS_17CUDAGeneratorImplEZZZNS4_16geometric_kernelIS7_EEvRNS_18TensorIteratorBaseEdT_ENKUlvE_clEvENKUlvE5_clEvEUlfE_EEvSA_T1_T2_EUlP25hiprandStatePhilox4_32_10E0_ZNS1_27distribution_nullary_kernelIff15HIP_vector_typeIfLj4EES7_SJ_SE_EEvSA_SG_RKT3_T4_EUlifE0_EEvlNS_15PhiloxCudaStateESF_SG_.kd
    .uniform_work_group_size: 1
    .uses_dynamic_stack: false
    .vgpr_count:     45
    .vgpr_spill_count: 0
    .wavefront_size: 32
    .workgroup_processor_mode: 1
  - .args:
      - .offset:         0
        .size:           8
        .value_kind:     by_value
      - .offset:         8
        .size:           32
        .value_kind:     by_value
      - .offset:         40
        .size:           1
        .value_kind:     by_value
      - .offset:         48
        .size:           24
        .value_kind:     by_value
      - .offset:         72
        .size:           4
        .value_kind:     hidden_block_count_x
      - .offset:         76
        .size:           4
        .value_kind:     hidden_block_count_y
      - .offset:         80
        .size:           4
        .value_kind:     hidden_block_count_z
      - .offset:         84
        .size:           2
        .value_kind:     hidden_group_size_x
      - .offset:         86
        .size:           2
        .value_kind:     hidden_group_size_y
      - .offset:         88
        .size:           2
        .value_kind:     hidden_group_size_z
      - .offset:         90
        .size:           2
        .value_kind:     hidden_remainder_x
      - .offset:         92
        .size:           2
        .value_kind:     hidden_remainder_y
      - .offset:         94
        .size:           2
        .value_kind:     hidden_remainder_z
      - .offset:         112
        .size:           8
        .value_kind:     hidden_global_offset_x
      - .offset:         120
        .size:           8
        .value_kind:     hidden_global_offset_y
      - .offset:         128
        .size:           8
        .value_kind:     hidden_global_offset_z
      - .offset:         136
        .size:           2
        .value_kind:     hidden_grid_dims
    .group_segment_fixed_size: 0
    .kernarg_segment_align: 8
    .kernarg_segment_size: 328
    .language:       OpenCL C
    .language_version:
      - 2
      - 0
    .max_flat_workgroup_size: 256
    .name:           _ZN2at6native12_GLOBAL__N_143distribution_elementwise_grid_stride_kernelIfLi4EZNS0_9templates4cuda21uniform_and_transformIN3c104HalfEfPNS_17CUDAGeneratorImplEZZZNS4_16geometric_kernelIS9_EEvRNS_18TensorIteratorBaseEdT_ENKUlvE_clEvENKUlvE6_clEvEUlfE_EEvSC_T1_T2_EUlP25hiprandStatePhilox4_32_10E_ZNS1_27distribution_nullary_kernelIS7_f15HIP_vector_typeIdLj2EES9_SL_SG_EEvSC_SI_RKT3_T4_EUlifE_EEvlNS_15PhiloxCudaStateESH_SI_
    .private_segment_fixed_size: 0
    .sgpr_count:     25
    .sgpr_spill_count: 0
    .symbol:         _ZN2at6native12_GLOBAL__N_143distribution_elementwise_grid_stride_kernelIfLi4EZNS0_9templates4cuda21uniform_and_transformIN3c104HalfEfPNS_17CUDAGeneratorImplEZZZNS4_16geometric_kernelIS9_EEvRNS_18TensorIteratorBaseEdT_ENKUlvE_clEvENKUlvE6_clEvEUlfE_EEvSC_T1_T2_EUlP25hiprandStatePhilox4_32_10E_ZNS1_27distribution_nullary_kernelIS7_f15HIP_vector_typeIdLj2EES9_SL_SG_EEvSC_SI_RKT3_T4_EUlifE_EEvlNS_15PhiloxCudaStateESH_SI_.kd
    .uniform_work_group_size: 1
    .uses_dynamic_stack: false
    .vgpr_count:     48
    .vgpr_spill_count: 0
    .wavefront_size: 32
    .workgroup_processor_mode: 1
  - .args:
      - .offset:         0
        .size:           8
        .value_kind:     by_value
      - .offset:         8
        .size:           32
        .value_kind:     by_value
      - .offset:         40
        .size:           1
        .value_kind:     by_value
      - .offset:         48
        .size:           280
        .value_kind:     by_value
      - .offset:         328
        .size:           4
        .value_kind:     hidden_block_count_x
      - .offset:         332
        .size:           4
        .value_kind:     hidden_block_count_y
      - .offset:         336
        .size:           4
        .value_kind:     hidden_block_count_z
      - .offset:         340
        .size:           2
        .value_kind:     hidden_group_size_x
      - .offset:         342
        .size:           2
        .value_kind:     hidden_group_size_y
      - .offset:         344
        .size:           2
        .value_kind:     hidden_group_size_z
      - .offset:         346
        .size:           2
        .value_kind:     hidden_remainder_x
      - .offset:         348
        .size:           2
        .value_kind:     hidden_remainder_y
      - .offset:         350
        .size:           2
        .value_kind:     hidden_remainder_z
      - .offset:         368
        .size:           8
        .value_kind:     hidden_global_offset_x
      - .offset:         376
        .size:           8
        .value_kind:     hidden_global_offset_y
      - .offset:         384
        .size:           8
        .value_kind:     hidden_global_offset_z
      - .offset:         392
        .size:           2
        .value_kind:     hidden_grid_dims
    .group_segment_fixed_size: 0
    .kernarg_segment_align: 8
    .kernarg_segment_size: 584
    .language:       OpenCL C
    .language_version:
      - 2
      - 0
    .max_flat_workgroup_size: 256
    .name:           _ZN2at6native12_GLOBAL__N_143distribution_elementwise_grid_stride_kernelIfLi4EZNS0_9templates4cuda21uniform_and_transformIN3c104HalfEfPNS_17CUDAGeneratorImplEZZZNS4_16geometric_kernelIS9_EEvRNS_18TensorIteratorBaseEdT_ENKUlvE_clEvENKUlvE6_clEvEUlfE_EEvSC_T1_T2_EUlP25hiprandStatePhilox4_32_10E_ZNS1_27distribution_nullary_kernelIS7_f15HIP_vector_typeIdLj2EES9_SL_SG_EEvSC_SI_RKT3_T4_EUlifE0_EEvlNS_15PhiloxCudaStateESH_SI_
    .private_segment_fixed_size: 0
    .sgpr_count:     58
    .sgpr_spill_count: 0
    .symbol:         _ZN2at6native12_GLOBAL__N_143distribution_elementwise_grid_stride_kernelIfLi4EZNS0_9templates4cuda21uniform_and_transformIN3c104HalfEfPNS_17CUDAGeneratorImplEZZZNS4_16geometric_kernelIS9_EEvRNS_18TensorIteratorBaseEdT_ENKUlvE_clEvENKUlvE6_clEvEUlfE_EEvSC_T1_T2_EUlP25hiprandStatePhilox4_32_10E_ZNS1_27distribution_nullary_kernelIS7_f15HIP_vector_typeIdLj2EES9_SL_SG_EEvSC_SI_RKT3_T4_EUlifE0_EEvlNS_15PhiloxCudaStateESH_SI_.kd
    .uniform_work_group_size: 1
    .uses_dynamic_stack: false
    .vgpr_count:     46
    .vgpr_spill_count: 0
    .wavefront_size: 32
    .workgroup_processor_mode: 1
  - .args:
      - .offset:         0
        .size:           8
        .value_kind:     by_value
      - .offset:         8
        .size:           32
        .value_kind:     by_value
      - .offset:         40
        .size:           1
        .value_kind:     by_value
      - .offset:         48
        .size:           24
        .value_kind:     by_value
      - .offset:         72
        .size:           4
        .value_kind:     hidden_block_count_x
      - .offset:         76
        .size:           4
        .value_kind:     hidden_block_count_y
      - .offset:         80
        .size:           4
        .value_kind:     hidden_block_count_z
      - .offset:         84
        .size:           2
        .value_kind:     hidden_group_size_x
      - .offset:         86
        .size:           2
        .value_kind:     hidden_group_size_y
      - .offset:         88
        .size:           2
        .value_kind:     hidden_group_size_z
      - .offset:         90
        .size:           2
        .value_kind:     hidden_remainder_x
      - .offset:         92
        .size:           2
        .value_kind:     hidden_remainder_y
      - .offset:         94
        .size:           2
        .value_kind:     hidden_remainder_z
      - .offset:         112
        .size:           8
        .value_kind:     hidden_global_offset_x
      - .offset:         120
        .size:           8
        .value_kind:     hidden_global_offset_y
      - .offset:         128
        .size:           8
        .value_kind:     hidden_global_offset_z
      - .offset:         136
        .size:           2
        .value_kind:     hidden_grid_dims
    .group_segment_fixed_size: 0
    .kernarg_segment_align: 8
    .kernarg_segment_size: 328
    .language:       OpenCL C
    .language_version:
      - 2
      - 0
    .max_flat_workgroup_size: 256
    .name:           _ZN2at6native12_GLOBAL__N_143distribution_elementwise_grid_stride_kernelIfLi4EZNS0_9templates4cuda21uniform_and_transformIN3c104HalfEfPNS_17CUDAGeneratorImplEZZZNS4_16geometric_kernelIS9_EEvRNS_18TensorIteratorBaseEdT_ENKUlvE_clEvENKUlvE6_clEvEUlfE_EEvSC_T1_T2_EUlP25hiprandStatePhilox4_32_10E0_ZNS1_27distribution_nullary_kernelIS7_f15HIP_vector_typeIfLj4EES9_SL_SG_EEvSC_SI_RKT3_T4_EUlifE_EEvlNS_15PhiloxCudaStateESH_SI_
    .private_segment_fixed_size: 0
    .sgpr_count:     25
    .sgpr_spill_count: 0
    .symbol:         _ZN2at6native12_GLOBAL__N_143distribution_elementwise_grid_stride_kernelIfLi4EZNS0_9templates4cuda21uniform_and_transformIN3c104HalfEfPNS_17CUDAGeneratorImplEZZZNS4_16geometric_kernelIS9_EEvRNS_18TensorIteratorBaseEdT_ENKUlvE_clEvENKUlvE6_clEvEUlfE_EEvSC_T1_T2_EUlP25hiprandStatePhilox4_32_10E0_ZNS1_27distribution_nullary_kernelIS7_f15HIP_vector_typeIfLj4EES9_SL_SG_EEvSC_SI_RKT3_T4_EUlifE_EEvlNS_15PhiloxCudaStateESH_SI_.kd
    .uniform_work_group_size: 1
    .uses_dynamic_stack: false
    .vgpr_count:     45
    .vgpr_spill_count: 0
    .wavefront_size: 32
    .workgroup_processor_mode: 1
  - .args:
      - .offset:         0
        .size:           8
        .value_kind:     by_value
      - .offset:         8
        .size:           32
        .value_kind:     by_value
      - .offset:         40
        .size:           1
        .value_kind:     by_value
      - .offset:         48
        .size:           280
        .value_kind:     by_value
      - .offset:         328
        .size:           4
        .value_kind:     hidden_block_count_x
      - .offset:         332
        .size:           4
        .value_kind:     hidden_block_count_y
      - .offset:         336
        .size:           4
        .value_kind:     hidden_block_count_z
      - .offset:         340
        .size:           2
        .value_kind:     hidden_group_size_x
      - .offset:         342
        .size:           2
        .value_kind:     hidden_group_size_y
      - .offset:         344
        .size:           2
        .value_kind:     hidden_group_size_z
      - .offset:         346
        .size:           2
        .value_kind:     hidden_remainder_x
      - .offset:         348
        .size:           2
        .value_kind:     hidden_remainder_y
      - .offset:         350
        .size:           2
        .value_kind:     hidden_remainder_z
      - .offset:         368
        .size:           8
        .value_kind:     hidden_global_offset_x
      - .offset:         376
        .size:           8
        .value_kind:     hidden_global_offset_y
      - .offset:         384
        .size:           8
        .value_kind:     hidden_global_offset_z
      - .offset:         392
        .size:           2
        .value_kind:     hidden_grid_dims
    .group_segment_fixed_size: 0
    .kernarg_segment_align: 8
    .kernarg_segment_size: 584
    .language:       OpenCL C
    .language_version:
      - 2
      - 0
    .max_flat_workgroup_size: 256
    .name:           _ZN2at6native12_GLOBAL__N_143distribution_elementwise_grid_stride_kernelIfLi4EZNS0_9templates4cuda21uniform_and_transformIN3c104HalfEfPNS_17CUDAGeneratorImplEZZZNS4_16geometric_kernelIS9_EEvRNS_18TensorIteratorBaseEdT_ENKUlvE_clEvENKUlvE6_clEvEUlfE_EEvSC_T1_T2_EUlP25hiprandStatePhilox4_32_10E0_ZNS1_27distribution_nullary_kernelIS7_f15HIP_vector_typeIfLj4EES9_SL_SG_EEvSC_SI_RKT3_T4_EUlifE0_EEvlNS_15PhiloxCudaStateESH_SI_
    .private_segment_fixed_size: 0
    .sgpr_count:     58
    .sgpr_spill_count: 0
    .symbol:         _ZN2at6native12_GLOBAL__N_143distribution_elementwise_grid_stride_kernelIfLi4EZNS0_9templates4cuda21uniform_and_transformIN3c104HalfEfPNS_17CUDAGeneratorImplEZZZNS4_16geometric_kernelIS9_EEvRNS_18TensorIteratorBaseEdT_ENKUlvE_clEvENKUlvE6_clEvEUlfE_EEvSC_T1_T2_EUlP25hiprandStatePhilox4_32_10E0_ZNS1_27distribution_nullary_kernelIS7_f15HIP_vector_typeIfLj4EES9_SL_SG_EEvSC_SI_RKT3_T4_EUlifE0_EEvlNS_15PhiloxCudaStateESH_SI_.kd
    .uniform_work_group_size: 1
    .uses_dynamic_stack: false
    .vgpr_count:     45
    .vgpr_spill_count: 0
    .wavefront_size: 32
    .workgroup_processor_mode: 1
  - .args:
      - .offset:         0
        .size:           8
        .value_kind:     by_value
      - .offset:         8
        .size:           32
        .value_kind:     by_value
      - .offset:         40
        .size:           1
        .value_kind:     by_value
      - .offset:         48
        .size:           24
        .value_kind:     by_value
      - .offset:         72
        .size:           4
        .value_kind:     hidden_block_count_x
      - .offset:         76
        .size:           4
        .value_kind:     hidden_block_count_y
      - .offset:         80
        .size:           4
        .value_kind:     hidden_block_count_z
      - .offset:         84
        .size:           2
        .value_kind:     hidden_group_size_x
      - .offset:         86
        .size:           2
        .value_kind:     hidden_group_size_y
      - .offset:         88
        .size:           2
        .value_kind:     hidden_group_size_z
      - .offset:         90
        .size:           2
        .value_kind:     hidden_remainder_x
      - .offset:         92
        .size:           2
        .value_kind:     hidden_remainder_y
      - .offset:         94
        .size:           2
        .value_kind:     hidden_remainder_z
      - .offset:         112
        .size:           8
        .value_kind:     hidden_global_offset_x
      - .offset:         120
        .size:           8
        .value_kind:     hidden_global_offset_y
      - .offset:         128
        .size:           8
        .value_kind:     hidden_global_offset_z
      - .offset:         136
        .size:           2
        .value_kind:     hidden_grid_dims
    .group_segment_fixed_size: 0
    .kernarg_segment_align: 8
    .kernarg_segment_size: 328
    .language:       OpenCL C
    .language_version:
      - 2
      - 0
    .max_flat_workgroup_size: 256
    .name:           _ZN2at6native12_GLOBAL__N_143distribution_elementwise_grid_stride_kernelIfLi4EZNS0_9templates4cuda21uniform_and_transformIN3c108BFloat16EfPNS_17CUDAGeneratorImplEZZZNS4_16geometric_kernelIS9_EEvRNS_18TensorIteratorBaseEdT_ENKUlvE_clEvENKUlvE7_clEvEUlfE_EEvSC_T1_T2_EUlP25hiprandStatePhilox4_32_10E_ZNS1_27distribution_nullary_kernelIS7_f15HIP_vector_typeIdLj2EES9_SL_SG_EEvSC_SI_RKT3_T4_EUlifE_EEvlNS_15PhiloxCudaStateESH_SI_
    .private_segment_fixed_size: 0
    .sgpr_count:     25
    .sgpr_spill_count: 0
    .symbol:         _ZN2at6native12_GLOBAL__N_143distribution_elementwise_grid_stride_kernelIfLi4EZNS0_9templates4cuda21uniform_and_transformIN3c108BFloat16EfPNS_17CUDAGeneratorImplEZZZNS4_16geometric_kernelIS9_EEvRNS_18TensorIteratorBaseEdT_ENKUlvE_clEvENKUlvE7_clEvEUlfE_EEvSC_T1_T2_EUlP25hiprandStatePhilox4_32_10E_ZNS1_27distribution_nullary_kernelIS7_f15HIP_vector_typeIdLj2EES9_SL_SG_EEvSC_SI_RKT3_T4_EUlifE_EEvlNS_15PhiloxCudaStateESH_SI_.kd
    .uniform_work_group_size: 1
    .uses_dynamic_stack: false
    .vgpr_count:     48
    .vgpr_spill_count: 0
    .wavefront_size: 32
    .workgroup_processor_mode: 1
  - .args:
      - .offset:         0
        .size:           8
        .value_kind:     by_value
      - .offset:         8
        .size:           32
        .value_kind:     by_value
      - .offset:         40
        .size:           1
        .value_kind:     by_value
      - .offset:         48
        .size:           280
        .value_kind:     by_value
      - .offset:         328
        .size:           4
        .value_kind:     hidden_block_count_x
      - .offset:         332
        .size:           4
        .value_kind:     hidden_block_count_y
      - .offset:         336
        .size:           4
        .value_kind:     hidden_block_count_z
      - .offset:         340
        .size:           2
        .value_kind:     hidden_group_size_x
      - .offset:         342
        .size:           2
        .value_kind:     hidden_group_size_y
      - .offset:         344
        .size:           2
        .value_kind:     hidden_group_size_z
      - .offset:         346
        .size:           2
        .value_kind:     hidden_remainder_x
      - .offset:         348
        .size:           2
        .value_kind:     hidden_remainder_y
      - .offset:         350
        .size:           2
        .value_kind:     hidden_remainder_z
      - .offset:         368
        .size:           8
        .value_kind:     hidden_global_offset_x
      - .offset:         376
        .size:           8
        .value_kind:     hidden_global_offset_y
      - .offset:         384
        .size:           8
        .value_kind:     hidden_global_offset_z
      - .offset:         392
        .size:           2
        .value_kind:     hidden_grid_dims
    .group_segment_fixed_size: 0
    .kernarg_segment_align: 8
    .kernarg_segment_size: 584
    .language:       OpenCL C
    .language_version:
      - 2
      - 0
    .max_flat_workgroup_size: 256
    .name:           _ZN2at6native12_GLOBAL__N_143distribution_elementwise_grid_stride_kernelIfLi4EZNS0_9templates4cuda21uniform_and_transformIN3c108BFloat16EfPNS_17CUDAGeneratorImplEZZZNS4_16geometric_kernelIS9_EEvRNS_18TensorIteratorBaseEdT_ENKUlvE_clEvENKUlvE7_clEvEUlfE_EEvSC_T1_T2_EUlP25hiprandStatePhilox4_32_10E_ZNS1_27distribution_nullary_kernelIS7_f15HIP_vector_typeIdLj2EES9_SL_SG_EEvSC_SI_RKT3_T4_EUlifE0_EEvlNS_15PhiloxCudaStateESH_SI_
    .private_segment_fixed_size: 0
    .sgpr_count:     58
    .sgpr_spill_count: 0
    .symbol:         _ZN2at6native12_GLOBAL__N_143distribution_elementwise_grid_stride_kernelIfLi4EZNS0_9templates4cuda21uniform_and_transformIN3c108BFloat16EfPNS_17CUDAGeneratorImplEZZZNS4_16geometric_kernelIS9_EEvRNS_18TensorIteratorBaseEdT_ENKUlvE_clEvENKUlvE7_clEvEUlfE_EEvSC_T1_T2_EUlP25hiprandStatePhilox4_32_10E_ZNS1_27distribution_nullary_kernelIS7_f15HIP_vector_typeIdLj2EES9_SL_SG_EEvSC_SI_RKT3_T4_EUlifE0_EEvlNS_15PhiloxCudaStateESH_SI_.kd
    .uniform_work_group_size: 1
    .uses_dynamic_stack: false
    .vgpr_count:     46
    .vgpr_spill_count: 0
    .wavefront_size: 32
    .workgroup_processor_mode: 1
  - .args:
      - .offset:         0
        .size:           8
        .value_kind:     by_value
      - .offset:         8
        .size:           32
        .value_kind:     by_value
      - .offset:         40
        .size:           1
        .value_kind:     by_value
      - .offset:         48
        .size:           24
        .value_kind:     by_value
      - .offset:         72
        .size:           4
        .value_kind:     hidden_block_count_x
      - .offset:         76
        .size:           4
        .value_kind:     hidden_block_count_y
      - .offset:         80
        .size:           4
        .value_kind:     hidden_block_count_z
      - .offset:         84
        .size:           2
        .value_kind:     hidden_group_size_x
      - .offset:         86
        .size:           2
        .value_kind:     hidden_group_size_y
      - .offset:         88
        .size:           2
        .value_kind:     hidden_group_size_z
      - .offset:         90
        .size:           2
        .value_kind:     hidden_remainder_x
      - .offset:         92
        .size:           2
        .value_kind:     hidden_remainder_y
      - .offset:         94
        .size:           2
        .value_kind:     hidden_remainder_z
      - .offset:         112
        .size:           8
        .value_kind:     hidden_global_offset_x
      - .offset:         120
        .size:           8
        .value_kind:     hidden_global_offset_y
      - .offset:         128
        .size:           8
        .value_kind:     hidden_global_offset_z
      - .offset:         136
        .size:           2
        .value_kind:     hidden_grid_dims
    .group_segment_fixed_size: 0
    .kernarg_segment_align: 8
    .kernarg_segment_size: 328
    .language:       OpenCL C
    .language_version:
      - 2
      - 0
    .max_flat_workgroup_size: 256
    .name:           _ZN2at6native12_GLOBAL__N_143distribution_elementwise_grid_stride_kernelIfLi4EZNS0_9templates4cuda21uniform_and_transformIN3c108BFloat16EfPNS_17CUDAGeneratorImplEZZZNS4_16geometric_kernelIS9_EEvRNS_18TensorIteratorBaseEdT_ENKUlvE_clEvENKUlvE7_clEvEUlfE_EEvSC_T1_T2_EUlP25hiprandStatePhilox4_32_10E0_ZNS1_27distribution_nullary_kernelIS7_f15HIP_vector_typeIfLj4EES9_SL_SG_EEvSC_SI_RKT3_T4_EUlifE_EEvlNS_15PhiloxCudaStateESH_SI_
    .private_segment_fixed_size: 0
    .sgpr_count:     25
    .sgpr_spill_count: 0
    .symbol:         _ZN2at6native12_GLOBAL__N_143distribution_elementwise_grid_stride_kernelIfLi4EZNS0_9templates4cuda21uniform_and_transformIN3c108BFloat16EfPNS_17CUDAGeneratorImplEZZZNS4_16geometric_kernelIS9_EEvRNS_18TensorIteratorBaseEdT_ENKUlvE_clEvENKUlvE7_clEvEUlfE_EEvSC_T1_T2_EUlP25hiprandStatePhilox4_32_10E0_ZNS1_27distribution_nullary_kernelIS7_f15HIP_vector_typeIfLj4EES9_SL_SG_EEvSC_SI_RKT3_T4_EUlifE_EEvlNS_15PhiloxCudaStateESH_SI_.kd
    .uniform_work_group_size: 1
    .uses_dynamic_stack: false
    .vgpr_count:     45
    .vgpr_spill_count: 0
    .wavefront_size: 32
    .workgroup_processor_mode: 1
  - .args:
      - .offset:         0
        .size:           8
        .value_kind:     by_value
      - .offset:         8
        .size:           32
        .value_kind:     by_value
      - .offset:         40
        .size:           1
        .value_kind:     by_value
      - .offset:         48
        .size:           280
        .value_kind:     by_value
      - .offset:         328
        .size:           4
        .value_kind:     hidden_block_count_x
      - .offset:         332
        .size:           4
        .value_kind:     hidden_block_count_y
      - .offset:         336
        .size:           4
        .value_kind:     hidden_block_count_z
      - .offset:         340
        .size:           2
        .value_kind:     hidden_group_size_x
      - .offset:         342
        .size:           2
        .value_kind:     hidden_group_size_y
      - .offset:         344
        .size:           2
        .value_kind:     hidden_group_size_z
      - .offset:         346
        .size:           2
        .value_kind:     hidden_remainder_x
      - .offset:         348
        .size:           2
        .value_kind:     hidden_remainder_y
      - .offset:         350
        .size:           2
        .value_kind:     hidden_remainder_z
      - .offset:         368
        .size:           8
        .value_kind:     hidden_global_offset_x
      - .offset:         376
        .size:           8
        .value_kind:     hidden_global_offset_y
      - .offset:         384
        .size:           8
        .value_kind:     hidden_global_offset_z
      - .offset:         392
        .size:           2
        .value_kind:     hidden_grid_dims
    .group_segment_fixed_size: 0
    .kernarg_segment_align: 8
    .kernarg_segment_size: 584
    .language:       OpenCL C
    .language_version:
      - 2
      - 0
    .max_flat_workgroup_size: 256
    .name:           _ZN2at6native12_GLOBAL__N_143distribution_elementwise_grid_stride_kernelIfLi4EZNS0_9templates4cuda21uniform_and_transformIN3c108BFloat16EfPNS_17CUDAGeneratorImplEZZZNS4_16geometric_kernelIS9_EEvRNS_18TensorIteratorBaseEdT_ENKUlvE_clEvENKUlvE7_clEvEUlfE_EEvSC_T1_T2_EUlP25hiprandStatePhilox4_32_10E0_ZNS1_27distribution_nullary_kernelIS7_f15HIP_vector_typeIfLj4EES9_SL_SG_EEvSC_SI_RKT3_T4_EUlifE0_EEvlNS_15PhiloxCudaStateESH_SI_
    .private_segment_fixed_size: 0
    .sgpr_count:     58
    .sgpr_spill_count: 0
    .symbol:         _ZN2at6native12_GLOBAL__N_143distribution_elementwise_grid_stride_kernelIfLi4EZNS0_9templates4cuda21uniform_and_transformIN3c108BFloat16EfPNS_17CUDAGeneratorImplEZZZNS4_16geometric_kernelIS9_EEvRNS_18TensorIteratorBaseEdT_ENKUlvE_clEvENKUlvE7_clEvEUlfE_EEvSC_T1_T2_EUlP25hiprandStatePhilox4_32_10E0_ZNS1_27distribution_nullary_kernelIS7_f15HIP_vector_typeIfLj4EES9_SL_SG_EEvSC_SI_RKT3_T4_EUlifE0_EEvlNS_15PhiloxCudaStateESH_SI_.kd
    .uniform_work_group_size: 1
    .uses_dynamic_stack: false
    .vgpr_count:     45
    .vgpr_spill_count: 0
    .wavefront_size: 32
    .workgroup_processor_mode: 1
amdhsa.target:   amdgcn-amd-amdhsa--gfx1100
amdhsa.version:
  - 1
  - 2
...

	.end_amdgpu_metadata
